;; amdgpu-corpus repo=ROCm/rocFFT kind=compiled arch=gfx1100 opt=O3
	.text
	.amdgcn_target "amdgcn-amd-amdhsa--gfx1100"
	.amdhsa_code_object_version 6
	.protected	fft_rtc_back_len3000_factors_10_3_10_10_wgs_100_tpt_100_halfLds_dp_op_CI_CI_unitstride_sbrr_R2C_dirReg ; -- Begin function fft_rtc_back_len3000_factors_10_3_10_10_wgs_100_tpt_100_halfLds_dp_op_CI_CI_unitstride_sbrr_R2C_dirReg
	.globl	fft_rtc_back_len3000_factors_10_3_10_10_wgs_100_tpt_100_halfLds_dp_op_CI_CI_unitstride_sbrr_R2C_dirReg
	.p2align	8
	.type	fft_rtc_back_len3000_factors_10_3_10_10_wgs_100_tpt_100_halfLds_dp_op_CI_CI_unitstride_sbrr_R2C_dirReg,@function
fft_rtc_back_len3000_factors_10_3_10_10_wgs_100_tpt_100_halfLds_dp_op_CI_CI_unitstride_sbrr_R2C_dirReg: ; @fft_rtc_back_len3000_factors_10_3_10_10_wgs_100_tpt_100_halfLds_dp_op_CI_CI_unitstride_sbrr_R2C_dirReg
; %bb.0:
	s_clause 0x2
	s_load_b128 s[8:11], s[0:1], 0x0
	s_load_b128 s[4:7], s[0:1], 0x58
	;; [unrolled: 1-line block ×3, first 2 shown]
	v_mul_u32_u24_e32 v1, 0x290, v0
	v_mov_b32_e32 v3, 0
	s_delay_alu instid0(VALU_DEP_2) | instskip(NEXT) | instid1(VALU_DEP_1)
	v_lshrrev_b32_e32 v1, 16, v1
	v_add_nc_u32_e32 v5, s15, v1
	v_mov_b32_e32 v1, 0
	v_mov_b32_e32 v2, 0
	;; [unrolled: 1-line block ×3, first 2 shown]
	s_waitcnt lgkmcnt(0)
	v_cmp_lt_u64_e64 s2, s[10:11], 2
	s_delay_alu instid0(VALU_DEP_1)
	s_and_b32 vcc_lo, exec_lo, s2
	s_cbranch_vccnz .LBB0_8
; %bb.1:
	s_load_b64 s[2:3], s[0:1], 0x10
	v_mov_b32_e32 v1, 0
	v_mov_b32_e32 v2, 0
	s_add_u32 s12, s18, 8
	s_addc_u32 s13, s19, 0
	s_add_u32 s14, s16, 8
	s_addc_u32 s15, s17, 0
	v_dual_mov_b32 v155, v2 :: v_dual_mov_b32 v154, v1
	s_mov_b64 s[22:23], 1
	s_waitcnt lgkmcnt(0)
	s_add_u32 s20, s2, 8
	s_addc_u32 s21, s3, 0
.LBB0_2:                                ; =>This Inner Loop Header: Depth=1
	s_load_b64 s[24:25], s[20:21], 0x0
                                        ; implicit-def: $vgpr158_vgpr159
	s_mov_b32 s2, exec_lo
	s_waitcnt lgkmcnt(0)
	v_or_b32_e32 v4, s25, v6
	s_delay_alu instid0(VALU_DEP_1)
	v_cmpx_ne_u64_e32 0, v[3:4]
	s_xor_b32 s3, exec_lo, s2
	s_cbranch_execz .LBB0_4
; %bb.3:                                ;   in Loop: Header=BB0_2 Depth=1
	v_cvt_f32_u32_e32 v4, s24
	v_cvt_f32_u32_e32 v7, s25
	s_sub_u32 s2, 0, s24
	s_subb_u32 s26, 0, s25
	s_delay_alu instid0(VALU_DEP_1) | instskip(NEXT) | instid1(VALU_DEP_1)
	v_fmac_f32_e32 v4, 0x4f800000, v7
	v_rcp_f32_e32 v4, v4
	s_waitcnt_depctr 0xfff
	v_mul_f32_e32 v4, 0x5f7ffffc, v4
	s_delay_alu instid0(VALU_DEP_1) | instskip(NEXT) | instid1(VALU_DEP_1)
	v_mul_f32_e32 v7, 0x2f800000, v4
	v_trunc_f32_e32 v7, v7
	s_delay_alu instid0(VALU_DEP_1) | instskip(SKIP_1) | instid1(VALU_DEP_2)
	v_fmac_f32_e32 v4, 0xcf800000, v7
	v_cvt_u32_f32_e32 v7, v7
	v_cvt_u32_f32_e32 v4, v4
	s_delay_alu instid0(VALU_DEP_2) | instskip(NEXT) | instid1(VALU_DEP_2)
	v_mul_lo_u32 v8, s2, v7
	v_mul_hi_u32 v9, s2, v4
	v_mul_lo_u32 v10, s26, v4
	s_delay_alu instid0(VALU_DEP_2) | instskip(SKIP_1) | instid1(VALU_DEP_2)
	v_add_nc_u32_e32 v8, v9, v8
	v_mul_lo_u32 v9, s2, v4
	v_add_nc_u32_e32 v8, v8, v10
	s_delay_alu instid0(VALU_DEP_2) | instskip(NEXT) | instid1(VALU_DEP_2)
	v_mul_hi_u32 v10, v4, v9
	v_mul_lo_u32 v11, v4, v8
	v_mul_hi_u32 v12, v4, v8
	v_mul_hi_u32 v13, v7, v9
	v_mul_lo_u32 v9, v7, v9
	v_mul_hi_u32 v14, v7, v8
	v_mul_lo_u32 v8, v7, v8
	v_add_co_u32 v10, vcc_lo, v10, v11
	v_add_co_ci_u32_e32 v11, vcc_lo, 0, v12, vcc_lo
	s_delay_alu instid0(VALU_DEP_2) | instskip(NEXT) | instid1(VALU_DEP_2)
	v_add_co_u32 v9, vcc_lo, v10, v9
	v_add_co_ci_u32_e32 v9, vcc_lo, v11, v13, vcc_lo
	v_add_co_ci_u32_e32 v10, vcc_lo, 0, v14, vcc_lo
	s_delay_alu instid0(VALU_DEP_2) | instskip(NEXT) | instid1(VALU_DEP_2)
	v_add_co_u32 v8, vcc_lo, v9, v8
	v_add_co_ci_u32_e32 v9, vcc_lo, 0, v10, vcc_lo
	s_delay_alu instid0(VALU_DEP_2) | instskip(NEXT) | instid1(VALU_DEP_2)
	v_add_co_u32 v4, vcc_lo, v4, v8
	v_add_co_ci_u32_e32 v7, vcc_lo, v7, v9, vcc_lo
	s_delay_alu instid0(VALU_DEP_2) | instskip(SKIP_1) | instid1(VALU_DEP_3)
	v_mul_hi_u32 v8, s2, v4
	v_mul_lo_u32 v10, s26, v4
	v_mul_lo_u32 v9, s2, v7
	s_delay_alu instid0(VALU_DEP_1) | instskip(SKIP_1) | instid1(VALU_DEP_2)
	v_add_nc_u32_e32 v8, v8, v9
	v_mul_lo_u32 v9, s2, v4
	v_add_nc_u32_e32 v8, v8, v10
	s_delay_alu instid0(VALU_DEP_2) | instskip(NEXT) | instid1(VALU_DEP_2)
	v_mul_hi_u32 v10, v4, v9
	v_mul_lo_u32 v11, v4, v8
	v_mul_hi_u32 v12, v4, v8
	v_mul_hi_u32 v13, v7, v9
	v_mul_lo_u32 v9, v7, v9
	v_mul_hi_u32 v14, v7, v8
	v_mul_lo_u32 v8, v7, v8
	v_add_co_u32 v10, vcc_lo, v10, v11
	v_add_co_ci_u32_e32 v11, vcc_lo, 0, v12, vcc_lo
	s_delay_alu instid0(VALU_DEP_2) | instskip(NEXT) | instid1(VALU_DEP_2)
	v_add_co_u32 v9, vcc_lo, v10, v9
	v_add_co_ci_u32_e32 v9, vcc_lo, v11, v13, vcc_lo
	v_add_co_ci_u32_e32 v10, vcc_lo, 0, v14, vcc_lo
	s_delay_alu instid0(VALU_DEP_2) | instskip(NEXT) | instid1(VALU_DEP_2)
	v_add_co_u32 v8, vcc_lo, v9, v8
	v_add_co_ci_u32_e32 v9, vcc_lo, 0, v10, vcc_lo
	s_delay_alu instid0(VALU_DEP_2) | instskip(NEXT) | instid1(VALU_DEP_2)
	v_add_co_u32 v4, vcc_lo, v4, v8
	v_add_co_ci_u32_e32 v13, vcc_lo, v7, v9, vcc_lo
	s_delay_alu instid0(VALU_DEP_2) | instskip(SKIP_1) | instid1(VALU_DEP_3)
	v_mul_hi_u32 v14, v5, v4
	v_mad_u64_u32 v[9:10], null, v6, v4, 0
	v_mad_u64_u32 v[7:8], null, v5, v13, 0
	;; [unrolled: 1-line block ×3, first 2 shown]
	s_delay_alu instid0(VALU_DEP_2) | instskip(NEXT) | instid1(VALU_DEP_3)
	v_add_co_u32 v4, vcc_lo, v14, v7
	v_add_co_ci_u32_e32 v7, vcc_lo, 0, v8, vcc_lo
	s_delay_alu instid0(VALU_DEP_2) | instskip(NEXT) | instid1(VALU_DEP_2)
	v_add_co_u32 v4, vcc_lo, v4, v9
	v_add_co_ci_u32_e32 v4, vcc_lo, v7, v10, vcc_lo
	v_add_co_ci_u32_e32 v7, vcc_lo, 0, v12, vcc_lo
	s_delay_alu instid0(VALU_DEP_2) | instskip(NEXT) | instid1(VALU_DEP_2)
	v_add_co_u32 v4, vcc_lo, v4, v11
	v_add_co_ci_u32_e32 v9, vcc_lo, 0, v7, vcc_lo
	s_delay_alu instid0(VALU_DEP_2) | instskip(SKIP_1) | instid1(VALU_DEP_3)
	v_mul_lo_u32 v10, s25, v4
	v_mad_u64_u32 v[7:8], null, s24, v4, 0
	v_mul_lo_u32 v11, s24, v9
	s_delay_alu instid0(VALU_DEP_2) | instskip(NEXT) | instid1(VALU_DEP_2)
	v_sub_co_u32 v7, vcc_lo, v5, v7
	v_add3_u32 v8, v8, v11, v10
	s_delay_alu instid0(VALU_DEP_1) | instskip(NEXT) | instid1(VALU_DEP_1)
	v_sub_nc_u32_e32 v10, v6, v8
	v_subrev_co_ci_u32_e64 v10, s2, s25, v10, vcc_lo
	v_add_co_u32 v11, s2, v4, 2
	s_delay_alu instid0(VALU_DEP_1) | instskip(SKIP_3) | instid1(VALU_DEP_3)
	v_add_co_ci_u32_e64 v12, s2, 0, v9, s2
	v_sub_co_u32 v13, s2, v7, s24
	v_sub_co_ci_u32_e32 v8, vcc_lo, v6, v8, vcc_lo
	v_subrev_co_ci_u32_e64 v10, s2, 0, v10, s2
	v_cmp_le_u32_e32 vcc_lo, s24, v13
	s_delay_alu instid0(VALU_DEP_3) | instskip(SKIP_1) | instid1(VALU_DEP_4)
	v_cmp_eq_u32_e64 s2, s25, v8
	v_cndmask_b32_e64 v13, 0, -1, vcc_lo
	v_cmp_le_u32_e32 vcc_lo, s25, v10
	v_cndmask_b32_e64 v14, 0, -1, vcc_lo
	v_cmp_le_u32_e32 vcc_lo, s24, v7
	;; [unrolled: 2-line block ×3, first 2 shown]
	v_cndmask_b32_e64 v15, 0, -1, vcc_lo
	v_cmp_eq_u32_e32 vcc_lo, s25, v10
	s_delay_alu instid0(VALU_DEP_2) | instskip(SKIP_3) | instid1(VALU_DEP_3)
	v_cndmask_b32_e64 v7, v15, v7, s2
	v_cndmask_b32_e32 v10, v14, v13, vcc_lo
	v_add_co_u32 v13, vcc_lo, v4, 1
	v_add_co_ci_u32_e32 v14, vcc_lo, 0, v9, vcc_lo
	v_cmp_ne_u32_e32 vcc_lo, 0, v10
	s_delay_alu instid0(VALU_DEP_2) | instskip(NEXT) | instid1(VALU_DEP_4)
	v_cndmask_b32_e32 v8, v14, v12, vcc_lo
	v_cndmask_b32_e32 v10, v13, v11, vcc_lo
	v_cmp_ne_u32_e32 vcc_lo, 0, v7
	s_delay_alu instid0(VALU_DEP_2)
	v_dual_cndmask_b32 v159, v9, v8 :: v_dual_cndmask_b32 v158, v4, v10
.LBB0_4:                                ;   in Loop: Header=BB0_2 Depth=1
	s_and_not1_saveexec_b32 s2, s3
	s_cbranch_execz .LBB0_6
; %bb.5:                                ;   in Loop: Header=BB0_2 Depth=1
	v_cvt_f32_u32_e32 v4, s24
	s_sub_i32 s3, 0, s24
	v_mov_b32_e32 v159, v3
	s_delay_alu instid0(VALU_DEP_2) | instskip(SKIP_2) | instid1(VALU_DEP_1)
	v_rcp_iflag_f32_e32 v4, v4
	s_waitcnt_depctr 0xfff
	v_mul_f32_e32 v4, 0x4f7ffffe, v4
	v_cvt_u32_f32_e32 v4, v4
	s_delay_alu instid0(VALU_DEP_1) | instskip(NEXT) | instid1(VALU_DEP_1)
	v_mul_lo_u32 v7, s3, v4
	v_mul_hi_u32 v7, v4, v7
	s_delay_alu instid0(VALU_DEP_1) | instskip(NEXT) | instid1(VALU_DEP_1)
	v_add_nc_u32_e32 v4, v4, v7
	v_mul_hi_u32 v4, v5, v4
	s_delay_alu instid0(VALU_DEP_1) | instskip(SKIP_1) | instid1(VALU_DEP_2)
	v_mul_lo_u32 v7, v4, s24
	v_add_nc_u32_e32 v8, 1, v4
	v_sub_nc_u32_e32 v7, v5, v7
	s_delay_alu instid0(VALU_DEP_1) | instskip(SKIP_1) | instid1(VALU_DEP_2)
	v_subrev_nc_u32_e32 v9, s24, v7
	v_cmp_le_u32_e32 vcc_lo, s24, v7
	v_dual_cndmask_b32 v7, v7, v9 :: v_dual_cndmask_b32 v4, v4, v8
	s_delay_alu instid0(VALU_DEP_1) | instskip(NEXT) | instid1(VALU_DEP_2)
	v_cmp_le_u32_e32 vcc_lo, s24, v7
	v_add_nc_u32_e32 v8, 1, v4
	s_delay_alu instid0(VALU_DEP_1)
	v_cndmask_b32_e32 v158, v4, v8, vcc_lo
.LBB0_6:                                ;   in Loop: Header=BB0_2 Depth=1
	s_or_b32 exec_lo, exec_lo, s2
	s_delay_alu instid0(VALU_DEP_1) | instskip(NEXT) | instid1(VALU_DEP_2)
	v_mul_lo_u32 v4, v159, s24
	v_mul_lo_u32 v9, v158, s25
	s_load_b64 s[2:3], s[14:15], 0x0
	v_mad_u64_u32 v[7:8], null, v158, s24, 0
	s_load_b64 s[24:25], s[12:13], 0x0
	s_add_u32 s22, s22, 1
	s_addc_u32 s23, s23, 0
	s_add_u32 s12, s12, 8
	s_addc_u32 s13, s13, 0
	s_add_u32 s14, s14, 8
	s_delay_alu instid0(VALU_DEP_1) | instskip(SKIP_3) | instid1(VALU_DEP_2)
	v_add3_u32 v4, v8, v9, v4
	v_sub_co_u32 v8, vcc_lo, v5, v7
	s_addc_u32 s15, s15, 0
	s_add_u32 s20, s20, 8
	v_sub_co_ci_u32_e32 v6, vcc_lo, v6, v4, vcc_lo
	s_addc_u32 s21, s21, 0
	s_waitcnt lgkmcnt(0)
	s_delay_alu instid0(VALU_DEP_1)
	v_mul_lo_u32 v9, s2, v6
	v_mul_lo_u32 v10, s3, v8
	v_mad_u64_u32 v[4:5], null, s2, v8, v[1:2]
	v_mul_lo_u32 v11, s24, v6
	v_mul_lo_u32 v12, s25, v8
	v_mad_u64_u32 v[6:7], null, s24, v8, v[154:155]
	v_cmp_ge_u64_e64 s2, s[22:23], s[10:11]
	v_add3_u32 v2, v10, v5, v9
	s_delay_alu instid0(VALU_DEP_3) | instskip(NEXT) | instid1(VALU_DEP_4)
	v_dual_mov_b32 v1, v4 :: v_dual_mov_b32 v154, v6
	v_add3_u32 v155, v12, v7, v11
	s_delay_alu instid0(VALU_DEP_4)
	s_and_b32 vcc_lo, exec_lo, s2
	s_cbranch_vccnz .LBB0_9
; %bb.7:                                ;   in Loop: Header=BB0_2 Depth=1
	v_dual_mov_b32 v5, v158 :: v_dual_mov_b32 v6, v159
	s_branch .LBB0_2
.LBB0_8:
	v_dual_mov_b32 v155, v2 :: v_dual_mov_b32 v154, v1
	v_dual_mov_b32 v159, v6 :: v_dual_mov_b32 v158, v5
.LBB0_9:
	s_load_b64 s[0:1], s[0:1], 0x28
	v_mul_hi_u32 v3, 0x28f5c29, v0
	s_lshl_b64 s[10:11], s[10:11], 3
                                        ; implicit-def: $vgpr152
                                        ; implicit-def: $vgpr156
                                        ; implicit-def: $vgpr167
                                        ; implicit-def: $vgpr166
                                        ; implicit-def: $vgpr165
                                        ; implicit-def: $vgpr164
                                        ; implicit-def: $vgpr163
                                        ; implicit-def: $vgpr162
                                        ; implicit-def: $vgpr161
                                        ; implicit-def: $vgpr160
	s_delay_alu instid0(SALU_CYCLE_1) | instskip(SKIP_4) | instid1(VALU_DEP_1)
	s_add_u32 s2, s18, s10
	s_addc_u32 s3, s19, s11
	s_waitcnt lgkmcnt(0)
	v_cmp_gt_u64_e32 vcc_lo, s[0:1], v[158:159]
	v_cmp_le_u64_e64 s0, s[0:1], v[158:159]
	s_and_saveexec_b32 s1, s0
	s_delay_alu instid0(SALU_CYCLE_1)
	s_xor_b32 s0, exec_lo, s1
; %bb.10:
	v_mul_u32_u24_e32 v1, 0x64, v3
                                        ; implicit-def: $vgpr3
	s_delay_alu instid0(VALU_DEP_1) | instskip(NEXT) | instid1(VALU_DEP_1)
	v_sub_nc_u32_e32 v152, v0, v1
                                        ; implicit-def: $vgpr0
                                        ; implicit-def: $vgpr1_vgpr2
	v_add_nc_u32_e32 v156, 0x64, v152
	v_add_nc_u32_e32 v167, 0xc8, v152
	;; [unrolled: 1-line block ×9, first 2 shown]
; %bb.11:
	s_and_not1_saveexec_b32 s1, s0
	s_cbranch_execz .LBB0_13
; %bb.12:
	s_add_u32 s10, s16, s10
	s_addc_u32 s11, s17, s11
	v_lshlrev_b64 v[1:2], 4, v[1:2]
	s_load_b64 s[10:11], s[10:11], 0x0
	s_waitcnt lgkmcnt(0)
	v_mul_lo_u32 v6, s11, v158
	v_mul_lo_u32 v7, s10, v159
	v_mad_u64_u32 v[4:5], null, s10, v158, 0
	s_delay_alu instid0(VALU_DEP_1) | instskip(SKIP_1) | instid1(VALU_DEP_2)
	v_add3_u32 v5, v5, v7, v6
	v_mul_u32_u24_e32 v6, 0x64, v3
	v_lshlrev_b64 v[3:4], 4, v[4:5]
	s_delay_alu instid0(VALU_DEP_2) | instskip(NEXT) | instid1(VALU_DEP_1)
	v_sub_nc_u32_e32 v152, v0, v6
	v_lshlrev_b32_e32 v120, 4, v152
	s_delay_alu instid0(VALU_DEP_3) | instskip(NEXT) | instid1(VALU_DEP_1)
	v_add_co_u32 v0, s0, s4, v3
	v_add_co_ci_u32_e64 v3, s0, s5, v4, s0
	v_add_nc_u32_e32 v156, 0x64, v152
	s_delay_alu instid0(VALU_DEP_3) | instskip(NEXT) | instid1(VALU_DEP_1)
	v_add_co_u32 v0, s0, v0, v1
	v_add_co_ci_u32_e64 v1, s0, v3, v2, s0
	v_add_nc_u32_e32 v167, 0xc8, v152
	;; [unrolled: 4-line block ×3, first 2 shown]
	s_delay_alu instid0(VALU_DEP_3) | instskip(NEXT) | instid1(VALU_DEP_1)
	v_add_co_u32 v16, s0, 0x1000, v112
	v_add_co_ci_u32_e64 v17, s0, 0, v113, s0
	v_add_co_u32 v24, s0, 0x2000, v112
	s_delay_alu instid0(VALU_DEP_1) | instskip(SKIP_1) | instid1(VALU_DEP_1)
	v_add_co_ci_u32_e64 v25, s0, 0, v113, s0
	v_add_co_u32 v36, s0, 0x3000, v112
	v_add_co_ci_u32_e64 v37, s0, 0, v113, s0
	v_add_co_u32 v44, s0, 0x4000, v112
	s_delay_alu instid0(VALU_DEP_1) | instskip(SKIP_1) | instid1(VALU_DEP_1)
	v_add_co_ci_u32_e64 v45, s0, 0, v113, s0
	;; [unrolled: 5-line block ×5, first 2 shown]
	v_add_co_u32 v116, s0, 0xb000, v112
	v_add_co_ci_u32_e64 v117, s0, 0, v113, s0
	s_clause 0x1d
	global_load_b128 v[0:3], v[112:113], off offset:1600
	global_load_b128 v[4:7], v[112:113], off offset:3200
	;; [unrolled: 1-line block ×28, first 2 shown]
	global_load_b128 v[112:115], v[112:113], off
	global_load_b128 v[116:119], v[116:117], off offset:1344
	v_add_nc_u32_e32 v165, 0x190, v152
	v_add_nc_u32_e32 v164, 0x1f4, v152
	;; [unrolled: 1-line block ×7, first 2 shown]
	s_waitcnt vmcnt(29)
	ds_store_b128 v120, v[0:3] offset:1600
	s_waitcnt vmcnt(28)
	ds_store_b128 v120, v[4:7] offset:3200
	;; [unrolled: 2-line block ×28, first 2 shown]
	s_waitcnt vmcnt(1)
	ds_store_b128 v120, v[112:115]
	s_waitcnt vmcnt(0)
	ds_store_b128 v120, v[116:119] offset:46400
.LBB0_13:
	s_or_b32 exec_lo, exec_lo, s1
	v_lshlrev_b32_e32 v153, 4, v152
	s_load_b64 s[2:3], s[2:3], 0x0
	s_waitcnt lgkmcnt(0)
	s_barrier
	buffer_gl0_inv
	v_add_nc_u32_e32 v196, 0, v153
	v_mul_u32_u24_e32 v12, 10, v152
	s_mov_b32 s18, 0x134454ff
	s_mov_b32 s19, 0xbfee6f0e
	;; [unrolled: 1-line block ×3, first 2 shown]
	ds_load_b128 v[4:7], v196 offset:33600
	ds_load_b128 v[8:11], v196 offset:24000
	;; [unrolled: 1-line block ×8, first 2 shown]
	v_lshl_add_u32 v84, v12, 4, 0
	ds_load_b128 v[76:79], v196 offset:4800
	ds_load_b128 v[72:75], v196 offset:9600
	ds_load_b128 v[40:43], v196 offset:8000
	ds_load_b128 v[93:96], v196
	ds_load_b128 v[12:15], v196 offset:46400
	ds_load_b128 v[97:100], v196 offset:19200
	;; [unrolled: 1-line block ×18, first 2 shown]
	s_mov_b32 s12, s18
	s_waitcnt lgkmcnt(18)
	v_add_f64 v[135:136], v[93:94], v[72:73]
	s_mov_b32 s16, 0x4755a5e
	s_waitcnt lgkmcnt(16)
	v_add_f64 v[145:146], v[72:73], -v[97:98]
	v_add_f64 v[168:169], v[97:98], -v[72:73]
	s_waitcnt lgkmcnt(14)
	v_add_f64 v[139:140], v[97:98], v[101:102]
	v_add_f64 v[170:171], v[99:100], v[103:104]
	v_add_f64 v[172:173], v[97:98], -v[101:102]
	s_waitcnt lgkmcnt(11)
	v_add_f64 v[149:150], v[72:73], v[68:69]
	v_add_f64 v[184:185], v[74:75], v[70:71]
	s_mov_b32 s17, 0xbfe2cf23
	s_mov_b32 s11, 0x3fe2cf23
	s_waitcnt lgkmcnt(7)
	v_add_f64 v[194:195], v[109:110], v[80:81]
	v_add_f64 v[121:122], v[10:11], v[6:7]
	;; [unrolled: 1-line block ×4, first 2 shown]
	v_add_f64 v[127:128], v[20:21], -v[0:1]
	v_add_f64 v[129:130], v[8:9], -v[4:5]
	;; [unrolled: 1-line block ×3, first 2 shown]
	v_add_f64 v[133:134], v[20:21], v[0:1]
	v_add_f64 v[178:179], v[76:77], v[20:21]
	v_add_f64 v[180:181], v[78:79], v[22:23]
	v_add_f64 v[186:187], v[10:11], -v[6:7]
	v_add_f64 v[188:189], v[20:21], -v[8:9]
	;; [unrolled: 1-line block ×5, first 2 shown]
	v_add_f64 v[197:198], v[111:112], v[82:83]
	v_add_f64 v[203:204], v[6:7], -v[2:3]
	v_add_f64 v[201:202], v[2:3], -v[6:7]
	s_mov_b32 s10, s16
	v_add_f64 v[137:138], v[95:96], v[74:75]
	v_add_f64 v[141:142], v[74:75], -v[70:71]
	v_add_f64 v[174:175], v[74:75], -v[99:100]
	v_add_f64 v[176:177], v[99:100], -v[74:75]
	v_add_f64 v[182:183], v[72:73], -v[68:69]
	v_add_f64 v[20:21], v[8:9], -v[20:21]
	v_add_f64 v[199:200], v[4:5], -v[0:1]
	s_waitcnt lgkmcnt(3)
	v_add_f64 v[205:206], v[113:114], v[117:118]
	v_add_f64 v[97:98], v[135:136], v[97:98]
	v_add_f64 v[72:73], v[115:116], -v[119:120]
	v_add_f64 v[207:208], v[80:81], -v[113:114]
	;; [unrolled: 1-line block ×3, first 2 shown]
	v_add_f64 v[215:216], v[107:108], v[91:92]
	v_add_f64 v[217:218], v[115:116], v[119:120]
	v_add_f64 v[74:75], v[113:114], -v[117:118]
	v_add_f64 v[223:224], v[82:83], -v[115:116]
	;; [unrolled: 1-line block ×3, first 2 shown]
	s_waitcnt lgkmcnt(1)
	v_add_f64 v[229:230], v[82:83], v[66:67]
	v_fma_f64 v[139:140], v[139:140], -0.5, v[93:94]
	v_fma_f64 v[93:94], v[149:150], -0.5, v[93:94]
	;; [unrolled: 1-line block ×5, first 2 shown]
	v_add_f64 v[78:79], v[82:83], -v[66:67]
	v_fma_f64 v[149:150], v[170:171], -0.5, v[95:96]
	v_fma_f64 v[95:96], v[184:185], -0.5, v[95:96]
	;; [unrolled: 1-line block ×3, first 2 shown]
	v_add_f64 v[8:9], v[178:179], v[8:9]
	v_add_f64 v[10:11], v[180:181], v[10:11]
	;; [unrolled: 1-line block ×4, first 2 shown]
	v_add_f64 v[194:195], v[91:92], -v[87:88]
	v_add_f64 v[82:83], v[91:92], -v[18:19]
	v_add_f64 v[188:189], v[188:189], v[192:193]
	v_add_f64 v[115:116], v[197:198], v[115:116]
	v_add_f64 v[197:198], v[87:88], -v[91:92]
	v_add_f64 v[22:23], v[22:23], v[203:204]
	v_add_f64 v[143:144], v[99:100], -v[103:104]
	v_add_f64 v[213:214], v[105:106], v[89:90]
	v_add_f64 v[231:232], v[85:86], v[32:33]
	;; [unrolled: 1-line block ×5, first 2 shown]
	s_mov_b32 s4, 0x372fe950
	s_mov_b32 s5, 0x3fd3c6ef
	v_add_f64 v[99:100], v[137:138], v[99:100]
	v_add_f64 v[97:98], v[97:98], v[101:102]
	;; [unrolled: 1-line block ×3, first 2 shown]
	v_add_f64 v[147:148], v[68:69], -v[101:102]
	v_add_f64 v[227:228], v[80:81], v[64:65]
	v_add_f64 v[76:77], v[80:81], -v[64:65]
	v_add_f64 v[80:81], v[87:88], -v[34:35]
	;; [unrolled: 1-line block ×6, first 2 shown]
	v_add_f64 v[87:88], v[215:216], v[87:88]
	v_add_f64 v[215:216], v[117:118], -v[64:65]
	v_fma_f64 v[211:212], v[127:128], s[12:13], v[121:122]
	v_fma_f64 v[219:220], v[131:132], s[18:19], v[123:124]
	;; [unrolled: 1-line block ×8, first 2 shown]
	v_add_f64 v[4:5], v[8:9], v[4:5]
	v_add_f64 v[6:7], v[10:11], v[6:7]
	v_fma_f64 v[8:9], v[182:183], s[12:13], v[149:150]
	v_add_f64 v[101:102], v[119:120], -v[66:67]
	v_fma_f64 v[217:218], v[217:218], -0.5, v[111:112]
	v_fma_f64 v[111:112], v[229:230], -0.5, v[111:112]
	v_fma_f64 v[149:150], v[182:183], s[18:19], v[149:150]
	v_add_f64 v[113:114], v[113:114], v[117:118]
	v_add_f64 v[115:116], v[115:116], v[119:120]
	s_mov_b32 s21, 0xbfd3c6ef
	v_add_f64 v[85:86], v[213:214], v[85:86]
	v_add_f64 v[213:214], v[64:65], -v[117:118]
	v_fma_f64 v[135:136], v[135:136], -0.5, v[107:108]
	v_fma_f64 v[229:230], v[231:232], -0.5, v[105:106]
	;; [unrolled: 1-line block ×4, first 2 shown]
	v_fma_f64 v[170:171], v[143:144], s[12:13], v[93:94]
	v_fma_f64 v[93:94], v[143:144], s[18:19], v[93:94]
	;; [unrolled: 1-line block ×4, first 2 shown]
	v_add_f64 v[117:118], v[24:25], v[36:37]
	v_add_f64 v[68:69], v[97:98], v[68:69]
	;; [unrolled: 1-line block ×3, first 2 shown]
	s_mov_b32 s20, s4
	v_add_f64 v[99:100], v[99:100], v[103:104]
	s_mov_b32 s14, 0x9b97f4a8
	s_mov_b32 s15, 0x3fe9e377
	;; [unrolled: 1-line block ×4, first 2 shown]
	v_add_f64 v[89:90], v[89:90], -v[16:17]
	v_fma_f64 v[91:92], v[129:130], s[10:11], v[211:212]
	v_fma_f64 v[192:193], v[186:187], s[16:17], v[219:220]
	;; [unrolled: 1-line block ×5, first 2 shown]
	v_add_f64 v[219:220], v[103:104], -v[70:71]
	v_add_f64 v[127:128], v[70:71], -v[103:104]
	v_fma_f64 v[203:204], v[131:132], s[16:17], v[203:204]
	v_fma_f64 v[131:132], v[131:132], s[10:11], v[133:134]
	v_add_f64 v[129:130], v[66:67], -v[119:120]
	v_fma_f64 v[123:124], v[186:187], s[10:11], v[123:124]
	v_add_f64 v[119:120], v[26:27], v[38:39]
	v_add_f64 v[0:1], v[4:5], v[0:1]
	;; [unrolled: 1-line block ×3, first 2 shown]
	v_fma_f64 v[4:5], v[172:173], s[10:11], v[8:9]
	v_add_f64 v[103:104], v[16:17], -v[32:33]
	v_fma_f64 v[205:206], v[205:206], -0.5, v[109:110]
	v_fma_f64 v[109:110], v[227:228], -0.5, v[109:110]
	v_add_f64 v[221:222], v[32:33], -v[16:17]
	v_add_f64 v[227:228], v[18:19], -v[34:35]
	;; [unrolled: 1-line block ×3, first 2 shown]
	v_add_f64 v[145:146], v[145:146], v[147:148]
	v_add_f64 v[168:169], v[168:169], v[201:202]
	v_fma_f64 v[149:150], v[172:173], s[16:17], v[149:150]
	v_fma_f64 v[170:171], v[141:142], s[16:17], v[170:171]
	;; [unrolled: 1-line block ×5, first 2 shown]
	v_add_f64 v[143:144], v[24:25], -v[36:37]
	v_add_f64 v[207:208], v[207:208], v[213:214]
	v_add_f64 v[213:214], v[28:29], v[12:13]
	v_fma_f64 v[117:118], v[117:118], -0.5, v[40:41]
	v_add_f64 v[70:71], v[99:100], v[70:71]
	v_add_f64 v[133:134], v[48:49], v[56:57]
	;; [unrolled: 1-line block ×4, first 2 shown]
	s_waitcnt lgkmcnt(0)
	v_add_f64 v[201:202], v[56:57], v[44:45]
	v_add_f64 v[34:35], v[87:88], v[34:35]
	v_fma_f64 v[91:92], v[190:191], s[4:5], v[91:92]
	v_fma_f64 v[10:11], v[188:189], s[4:5], v[192:193]
	;; [unrolled: 1-line block ×7, first 2 shown]
	v_add_f64 v[176:177], v[176:177], v[219:220]
	v_add_f64 v[127:128], v[174:175], v[127:128]
	;; [unrolled: 1-line block ×3, first 2 shown]
	v_fma_f64 v[123:124], v[188:189], s[4:5], v[123:124]
	v_add_f64 v[188:189], v[30:31], -v[14:15]
	v_add_f64 v[223:224], v[28:29], -v[12:13]
	v_fma_f64 v[119:120], v[119:120], -0.5, v[42:43]
	v_add_f64 v[125:126], v[50:51], v[58:59]
	v_add_f64 v[219:220], v[58:59], v[46:47]
	;; [unrolled: 1-line block ×3, first 2 shown]
	v_add_f64 v[137:138], v[28:29], -v[24:25]
	v_add_f64 v[115:116], v[115:116], v[66:67]
	v_add_f64 v[194:195], v[194:195], v[227:228]
	v_add_f64 v[227:228], v[12:13], -v[36:37]
	v_add_f64 v[190:191], v[62:63], -v[54:55]
	;; [unrolled: 1-line block ×3, first 2 shown]
	v_add_f64 v[174:175], v[40:41], v[28:29]
	v_fma_f64 v[170:171], v[168:169], s[4:5], v[170:171]
	v_fma_f64 v[93:94], v[168:169], s[4:5], v[93:94]
	v_add_f64 v[168:169], v[30:31], -v[26:27]
	v_fma_f64 v[141:142], v[145:146], s[4:5], v[141:142]
	v_fma_f64 v[139:140], v[145:146], s[4:5], v[139:140]
	v_add_f64 v[145:146], v[38:39], -v[14:15]
	v_add_f64 v[113:114], v[113:114], v[64:65]
	v_add_f64 v[28:29], v[24:25], -v[28:29]
	v_add_f64 v[101:102], v[225:226], v[101:102]
	v_add_f64 v[133:134], v[133:134], v[60:61]
	v_fma_f64 v[147:148], v[147:148], -0.5, v[50:51]
	s_barrier
	v_add_f64 v[18:19], v[34:35], v[18:19]
	v_mul_f64 v[180:181], v[91:92], s[16:17]
	v_mul_f64 v[6:7], v[10:11], s[10:11]
	v_fma_f64 v[8:9], v[182:183], s[10:11], v[192:193]
	v_fma_f64 v[192:193], v[20:21], s[4:5], v[203:204]
	;; [unrolled: 1-line block ×4, first 2 shown]
	v_mul_f64 v[131:132], v[22:23], s[18:19]
	v_mul_f64 v[22:23], v[22:23], s[20:21]
	;; [unrolled: 1-line block ×4, first 2 shown]
	v_add_f64 v[182:183], v[42:43], v[30:31]
	v_mul_f64 v[172:173], v[121:122], s[16:17]
	v_mul_f64 v[121:122], v[121:122], s[22:23]
	v_fma_f64 v[42:43], v[97:98], -0.5, v[42:43]
	v_add_f64 v[97:98], v[209:210], v[215:216]
	v_fma_f64 v[209:210], v[184:185], s[18:19], v[107:108]
	v_fma_f64 v[4:5], v[127:128], s[4:5], v[4:5]
	;; [unrolled: 1-line block ×3, first 2 shown]
	v_add_f64 v[215:216], v[14:15], -v[38:39]
	v_fma_f64 v[127:128], v[127:128], s[4:5], v[149:150]
	v_add_f64 v[125:126], v[125:126], v[62:63]
	v_add_f64 v[137:138], v[137:138], v[227:228]
	v_fma_f64 v[50:51], v[219:220], -0.5, v[50:51]
	v_add_f64 v[24:25], v[174:175], v[24:25]
	v_fma_f64 v[174:175], v[76:77], s[12:13], v[217:218]
	buffer_gl0_inv
	s_mov_b32 s0, 0xe8584caa
	s_mov_b32 s1, 0xbfebb67a
	;; [unrolled: 1-line block ×4, first 2 shown]
	v_fma_f64 v[10:11], v[10:11], s[14:15], v[180:181]
	v_fma_f64 v[6:7], v[91:92], s[14:15], v[6:7]
	v_add_f64 v[180:181], v[26:27], -v[30:31]
	v_fma_f64 v[91:92], v[176:177], s[4:5], v[8:9]
	v_fma_f64 v[95:96], v[176:177], s[4:5], v[95:96]
	v_fma_f64 v[176:177], v[82:83], s[18:19], v[229:230]
	v_fma_f64 v[131:132], v[20:21], s[20:21], v[131:132]
	v_fma_f64 v[20:21], v[20:21], s[12:13], v[22:23]
	v_fma_f64 v[8:9], v[192:193], s[4:5], v[203:204]
	v_fma_f64 v[192:193], v[192:193], s[12:13], v[211:212]
	v_add_f64 v[203:204], v[26:27], -v[38:39]
	v_fma_f64 v[22:23], v[89:90], s[12:13], v[135:136]
	v_fma_f64 v[149:150], v[123:124], s[22:23], v[172:173]
	v_fma_f64 v[121:122], v[123:124], s[10:11], v[121:122]
	v_add_f64 v[123:124], v[178:179], v[221:222]
	v_add_f64 v[172:173], v[197:198], v[199:200]
	v_fma_f64 v[178:179], v[213:214], -0.5, v[40:41]
	v_fma_f64 v[135:136], v[89:90], s[18:19], v[135:136]
	v_fma_f64 v[199:200], v[223:224], s[12:13], v[119:120]
	;; [unrolled: 1-line block ×6, first 2 shown]
	v_add_f64 v[197:198], v[85:86], v[32:33]
	v_fma_f64 v[209:210], v[89:90], s[10:11], v[209:210]
	v_add_f64 v[32:33], v[70:71], v[2:3]
	v_add_f64 v[42:43], v[70:71], -v[2:3]
	v_fma_f64 v[107:108], v[89:90], s[16:17], v[107:108]
	v_add_f64 v[30:31], v[68:69], v[0:1]
	v_add_f64 v[40:41], v[68:69], -v[0:1]
	v_add_f64 v[168:169], v[168:169], v[215:216]
	v_add_f64 v[26:27], v[182:183], v[26:27]
	v_fma_f64 v[182:183], v[74:75], s[18:19], v[111:112]
	v_fma_f64 v[111:112], v[74:75], s[12:13], v[111:112]
	v_add_f64 v[125:126], v[125:126], v[54:55]
	v_fma_f64 v[174:175], v[74:75], s[10:11], v[174:175]
	v_add_f64 v[24:25], v[24:25], v[36:37]
	v_add_f64 v[64:65], v[141:142], v[10:11]
	;; [unrolled: 1-line block ×3, first 2 shown]
	v_add_f64 v[2:3], v[4:5], -v[6:7]
	v_add_f64 v[0:1], v[141:142], -v[10:11]
	v_add_f64 v[145:146], v[180:181], v[145:146]
	v_add_f64 v[180:181], v[36:37], -v[12:13]
	v_add_f64 v[85:86], v[93:94], v[131:132]
	v_add_f64 v[87:88], v[95:96], v[20:21]
	v_add_f64 v[6:7], v[95:96], -v[20:21]
	v_fma_f64 v[95:96], v[80:81], s[12:13], v[105:106]
	v_add_f64 v[68:69], v[170:171], v[8:9]
	v_add_f64 v[70:71], v[91:92], v[192:193]
	v_add_f64 v[8:9], v[170:171], -v[8:9]
	v_add_f64 v[10:11], v[91:92], -v[192:193]
	v_fma_f64 v[141:142], v[184:185], s[10:11], v[22:23]
	v_add_f64 v[4:5], v[93:94], -v[131:132]
	v_fma_f64 v[93:94], v[80:81], s[16:17], v[176:177]
	v_add_f64 v[89:90], v[139:140], v[149:150]
	v_add_f64 v[91:92], v[127:128], v[121:122]
	v_add_f64 v[20:21], v[139:140], -v[149:150]
	v_add_f64 v[22:23], v[127:128], -v[121:122]
	;; [unrolled: 1-line block ×3, first 2 shown]
	v_fma_f64 v[105:106], v[80:81], s[18:19], v[105:106]
	v_fma_f64 v[127:128], v[72:73], s[12:13], v[109:110]
	;; [unrolled: 1-line block ×3, first 2 shown]
	v_add_f64 v[60:61], v[60:61], -v[52:53]
	v_add_f64 v[131:132], v[58:59], -v[62:63]
	;; [unrolled: 1-line block ×4, first 2 shown]
	v_fma_f64 v[149:150], v[186:187], -0.5, v[48:49]
	v_fma_f64 v[170:171], v[82:83], s[12:13], v[229:230]
	v_fma_f64 v[135:136], v[184:185], s[16:17], v[135:136]
	v_fma_f64 v[176:177], v[143:144], s[10:11], v[199:200]
	v_fma_f64 v[184:185], v[203:204], s[16:17], v[211:212]
	v_fma_f64 v[186:187], v[203:204], s[12:13], v[178:179]
	v_fma_f64 v[192:193], v[223:224], s[10:11], v[213:214]
	v_fma_f64 v[199:200], v[223:224], s[16:17], v[221:222]
	v_fma_f64 v[48:49], v[201:202], -0.5, v[48:49]
	v_fma_f64 v[178:179], v[203:204], s[18:19], v[178:179]
	v_add_f64 v[58:59], v[62:63], -v[58:59]
	v_fma_f64 v[62:63], v[188:189], s[12:13], v[117:118]
	v_fma_f64 v[119:120], v[143:144], s[16:17], v[119:120]
	;; [unrolled: 1-line block ×5, first 2 shown]
	v_add_f64 v[28:29], v[28:29], v[180:181]
	v_fma_f64 v[182:183], v[76:77], s[10:11], v[182:183]
	v_fma_f64 v[95:96], v[82:83], s[16:17], v[95:96]
	;; [unrolled: 1-line block ×3, first 2 shown]
	v_add_f64 v[26:27], v[26:27], v[38:39]
	v_add_f64 v[12:13], v[24:25], v[12:13]
	;; [unrolled: 1-line block ×3, first 2 shown]
	v_fma_f64 v[117:118], v[194:195], s[4:5], v[141:142]
	v_fma_f64 v[141:142], v[78:79], s[18:19], v[205:206]
	;; [unrolled: 1-line block ×3, first 2 shown]
	ds_store_b128 v84, v[30:33]
	ds_store_b128 v84, v[64:67] offset:16
	ds_store_b128 v84, v[68:71] offset:32
	;; [unrolled: 1-line block ×7, first 2 shown]
	v_mul_i32_i24_e32 v1, 10, v167
	v_and_b32_e32 v2, 0xffff, v166
	v_and_b32_e32 v9, 0xffff, v165
	v_fma_f64 v[82:83], v[82:83], s[10:11], v[105:106]
	v_fma_f64 v[105:106], v[78:79], s[16:17], v[127:128]
	;; [unrolled: 1-line block ×3, first 2 shown]
	v_add_f64 v[127:128], v[133:134], v[52:53]
	v_fma_f64 v[78:79], v[78:79], s[12:13], v[205:206]
	v_add_f64 v[133:134], v[44:45], -v[52:53]
	v_add_f64 v[52:53], v[52:53], -v[44:45]
	v_fma_f64 v[201:202], v[56:57], s[12:13], v[147:148]
	v_fma_f64 v[80:81], v[80:81], s[10:11], v[170:171]
	;; [unrolled: 1-line block ×3, first 2 shown]
	v_add_f64 v[170:171], v[46:47], -v[54:55]
	v_add_f64 v[54:55], v[54:55], -v[46:47]
	v_fma_f64 v[176:177], v[168:169], s[4:5], v[176:177]
	v_fma_f64 v[184:185], v[137:138], s[4:5], v[184:185]
	;; [unrolled: 1-line block ×16, first 2 shown]
	v_mul_f64 v[111:112], v[143:144], s[18:19]
	v_mul_f64 v[143:144], v[143:144], s[4:5]
	;; [unrolled: 1-line block ×3, first 2 shown]
	v_fma_f64 v[141:142], v[72:73], s[16:17], v[141:142]
	v_mul_f64 v[168:169], v[93:94], s[10:11]
	v_fma_f64 v[38:39], v[74:75], s[16:17], v[172:173]
	v_add_f64 v[14:15], v[26:27], v[14:15]
	v_lshl_add_u32 v197, v1, 4, 0
	v_lshl_add_u32 v204, v165, 4, 0
	;; [unrolled: 1-line block ×3, first 2 shown]
	v_fma_f64 v[82:83], v[123:124], s[4:5], v[82:83]
	v_mul_f64 v[123:124], v[107:108], s[18:19]
	v_mul_f64 v[107:108], v[107:108], s[20:21]
	v_fma_f64 v[105:106], v[97:98], s[4:5], v[105:106]
	v_fma_f64 v[36:37], v[72:73], s[10:11], v[78:79]
	;; [unrolled: 1-line block ×3, first 2 shown]
	v_add_f64 v[52:53], v[121:122], v[52:53]
	v_add_f64 v[44:45], v[127:128], v[44:45]
	v_fma_f64 v[72:73], v[103:104], s[4:5], v[80:81]
	v_mul_f64 v[74:75], v[135:136], s[16:17]
	v_mul_f64 v[78:79], v[135:136], s[22:23]
	v_add_f64 v[80:81], v[99:100], v[133:134]
	v_add_f64 v[99:100], v[131:132], v[170:171]
	v_mul_f64 v[103:104], v[176:177], s[16:17]
	v_mul_f64 v[131:132], v[184:185], s[10:11]
	v_fma_f64 v[133:134], v[190:191], s[16:17], v[194:195]
	v_fma_f64 v[135:136], v[60:61], s[10:11], v[201:202]
	v_add_f64 v[54:55], v[58:59], v[54:55]
	v_fma_f64 v[58:59], v[28:29], s[4:5], v[180:181]
	v_fma_f64 v[172:173], v[139:140], s[16:17], v[192:193]
	;; [unrolled: 1-line block ×6, first 2 shown]
	v_mul_f64 v[56:57], v[145:146], s[18:19]
	v_mul_f64 v[139:140], v[145:146], s[20:21]
	v_fma_f64 v[145:146], v[190:191], s[10:11], v[149:150]
	v_fma_f64 v[60:61], v[60:61], s[16:17], v[147:148]
	;; [unrolled: 1-line block ×3, first 2 shown]
	v_mul_f64 v[137:138], v[119:120], s[16:17]
	v_mul_f64 v[119:120], v[119:120], s[22:23]
	;; [unrolled: 1-line block ×4, first 2 shown]
	v_fma_f64 v[111:112], v[95:96], s[4:5], v[111:112]
	v_fma_f64 v[34:35], v[93:94], s[14:15], v[199:200]
	;; [unrolled: 1-line block ×8, first 2 shown]
	v_add_f64 v[123:124], v[125:126], v[46:47]
	v_fma_f64 v[24:25], v[207:208], s[4:5], v[36:37]
	v_fma_f64 v[26:27], v[129:130], s[4:5], v[38:39]
	;; [unrolled: 1-line block ×4, first 2 shown]
	v_add_f64 v[40:41], v[44:45], v[12:13]
	v_fma_f64 v[36:37], v[72:73], s[22:23], v[74:75]
	v_fma_f64 v[38:39], v[72:73], s[10:11], v[78:79]
	v_lshl_add_u32 v201, v166, 4, 0
	v_mad_i32_i24 v157, 0xffffff70, v167, v197
	v_fma_f64 v[103:104], v[184:185], s[14:15], v[103:104]
	v_fma_f64 v[125:126], v[176:177], s[14:15], v[131:132]
	;; [unrolled: 1-line block ×4, first 2 shown]
	v_lshl_add_u32 v203, v163, 4, 0
	v_lshl_add_u32 v202, v162, 4, 0
	v_fma_f64 v[133:134], v[52:53], s[4:5], v[172:173]
	v_fma_f64 v[135:136], v[54:55], s[4:5], v[180:181]
	;; [unrolled: 1-line block ×4, first 2 shown]
	v_lshl_add_u32 v200, v161, 4, 0
	v_fma_f64 v[168:169], v[28:29], s[20:21], v[56:57]
	v_fma_f64 v[139:140], v[28:29], s[12:13], v[139:140]
	;; [unrolled: 1-line block ×4, first 2 shown]
	v_add_f64 v[56:57], v[113:114], v[16:17]
	v_fma_f64 v[137:138], v[62:63], s[22:23], v[137:138]
	v_fma_f64 v[119:120], v[62:63], s[10:11], v[119:120]
	;; [unrolled: 1-line block ×4, first 2 shown]
	v_add_f64 v[72:73], v[105:106], v[111:112]
	v_add_f64 v[76:77], v[105:106], -v[111:112]
	v_and_b32_e32 v106, 0xff, v152
	v_add_f64 v[68:69], v[117:118], -v[34:35]
	v_add_f64 v[66:67], v[141:142], v[93:94]
	v_add_f64 v[70:71], v[141:142], -v[93:94]
	v_add_f64 v[74:75], v[143:144], v[95:96]
	v_mul_lo_u16 v0, 0xcd, v106
	v_add_f64 v[78:79], v[143:144], -v[95:96]
	v_add_f64 v[42:43], v[123:124], v[14:15]
	v_add_f64 v[58:59], v[115:116], v[18:19]
	v_add_f64 v[60:61], v[113:114], -v[16:17]
	v_add_f64 v[62:63], v[115:116], -v[18:19]
	v_add_f64 v[64:65], v[117:118], v[34:35]
	v_add_f64 v[85:86], v[24:25], v[36:37]
	;; [unrolled: 1-line block ×3, first 2 shown]
	v_add_f64 v[93:94], v[24:25], -v[36:37]
	v_add_f64 v[95:96], v[26:27], -v[38:39]
	;; [unrolled: 1-line block ×6, first 2 shown]
	v_add_f64 v[80:81], v[97:98], v[109:110]
	v_add_f64 v[82:83], v[101:102], v[107:108]
	v_add_f64 v[44:45], v[127:128], v[103:104]
	v_add_f64 v[46:47], v[129:130], v[125:126]
	v_add_f64 v[89:90], v[97:98], -v[109:110]
	v_add_f64 v[91:92], v[101:102], -v[107:108]
	v_and_b32_e32 v105, 0xff, v156
	v_add_f64 v[12:13], v[147:148], -v[168:169]
	v_add_f64 v[14:15], v[149:150], -v[139:140]
	v_add_f64 v[52:53], v[147:148], v[168:169]
	v_add_f64 v[54:55], v[149:150], v[139:140]
	v_mul_lo_u16 v1, 0xcd, v105
	v_add_f64 v[36:37], v[145:146], v[137:138]
	v_add_f64 v[38:39], v[99:100], v[119:120]
	v_add_f64 v[32:33], v[133:134], -v[121:122]
	v_add_f64 v[34:35], v[135:136], -v[131:132]
	;; [unrolled: 1-line block ×4, first 2 shown]
	v_add_f64 v[48:49], v[133:134], v[121:122]
	v_add_f64 v[50:51], v[135:136], v[131:132]
	v_lshrrev_b16 v120, 11, v0
	v_and_b32_e32 v104, 0xffff, v167
	v_lshrrev_b16 v125, 11, v1
	v_mul_i32_i24_e32 v97, 10, v156
	v_lshl_add_u32 v199, v160, 4, 0
	v_mul_lo_u16 v0, v120, 10
	v_mul_u32_u24_e32 v1, 0xcccd, v104
	v_and_b32_e32 v120, 0xffff, v120
	v_lshl_add_u32 v198, v97, 4, 0
	ds_store_b128 v84, v[4:7] offset:128
	ds_store_b128 v84, v[20:23] offset:144
	ds_store_b128 v198, v[56:59]
	ds_store_b128 v198, v[64:67] offset:16
	v_sub_nc_u16 v0, v152, v0
	v_lshrrev_b32_e32 v121, 19, v1
	ds_store_b128 v198, v[72:75] offset:32
	ds_store_b128 v198, v[80:83] offset:48
	ds_store_b128 v198, v[85:88] offset:64
	ds_store_b128 v198, v[60:63] offset:80
	v_and_b32_e32 v119, 0xff, v0
	v_mul_lo_u16 v0, v125, 10
	v_mul_lo_u16 v3, v121, 10
	ds_store_b128 v198, v[68:71] offset:96
	ds_store_b128 v198, v[76:79] offset:112
	;; [unrolled: 1-line block ×4, first 2 shown]
	ds_store_b128 v197, v[40:43]
	ds_store_b128 v197, v[44:47] offset:16
	ds_store_b128 v197, v[48:51] offset:32
	ds_store_b128 v197, v[52:55] offset:48
	v_sub_nc_u16 v0, v156, v0
	v_lshlrev_b32_e32 v1, 5, v119
	ds_store_b128 v197, v[36:39] offset:64
	ds_store_b128 v197, v[24:27] offset:80
	;; [unrolled: 1-line block ×6, first 2 shown]
	v_and_b32_e32 v122, 0xff, v0
	v_mul_u32_u24_e32 v0, 0xcccd, v2
	v_sub_nc_u16 v2, v167, v3
	s_waitcnt lgkmcnt(0)
	s_barrier
	v_lshlrev_b32_e32 v8, 5, v122
	v_lshrrev_b32_e32 v124, 19, v0
	v_and_b32_e32 v123, 0xffff, v2
	buffer_gl0_inv
	s_clause 0x1
	global_load_b128 v[4:7], v1, s[8:9]
	global_load_b128 v[0:3], v1, s[8:9] offset:16
	v_mul_u32_u24_e32 v17, 0xcccd, v9
	s_clause 0x1
	global_load_b128 v[12:15], v8, s[8:9]
	global_load_b128 v[8:11], v8, s[8:9] offset:16
	v_mul_lo_u16 v16, v124, 10
	v_lshlrev_b32_e32 v20, 5, v123
	v_and_b32_e32 v32, 0xffff, v164
	v_lshrrev_b32_e32 v114, 19, v17
	v_and_b32_e32 v33, 0xffff, v163
	v_sub_nc_u16 v24, v166, v16
	s_clause 0x1
	global_load_b128 v[16:19], v20, s[8:9]
	global_load_b128 v[20:23], v20, s[8:9] offset:16
	v_mul_u32_u24_e32 v32, 0xcccd, v32
	v_and_b32_e32 v48, 0xffff, v161
	v_mul_u32_u24_e32 v37, 0xcccd, v33
	v_and_b32_e32 v126, 0xffff, v24
	v_mul_lo_u16 v24, v114, 10
	v_lshrrev_b32_e32 v115, 19, v32
	v_mul_u32_u24_e32 v48, 0xcccd, v48
	v_lshrrev_b32_e32 v117, 19, v37
	v_lshlrev_b32_e32 v28, 5, v126
	v_sub_nc_u16 v29, v165, v24
	v_mul_lo_u16 v38, v115, 10
	v_and_b32_e32 v50, 0xffff, v160
	v_mul_lo_u16 v39, v117, 10
	global_load_b128 v[24:27], v28, s[8:9]
	v_and_b32_e32 v116, 0xffff, v29
	v_sub_nc_u16 v37, v164, v38
	v_and_b32_e32 v38, 0xffff, v162
	v_sub_nc_u16 v41, v163, v39
	v_lshrrev_b32_e32 v110, 19, v48
	v_lshlrev_b32_e32 v36, 5, v116
	v_and_b32_e32 v118, 0xffff, v37
	v_mul_u32_u24_e32 v40, 0xcccd, v38
	v_mul_u32_u24_e32 v48, 0xcccd, v50
	v_and_b32_e32 v108, 0xffff, v41
	s_clause 0x2
	global_load_b128 v[32:35], v36, s[8:9]
	global_load_b128 v[28:31], v28, s[8:9] offset:16
	global_load_b128 v[36:39], v36, s[8:9] offset:16
	v_lshrrev_b32_e32 v107, 19, v40
	v_lshlrev_b32_e32 v42, 5, v118
	v_lshrrev_b32_e32 v109, 19, v48
	v_lshlrev_b32_e32 v51, 5, v108
	v_and_b32_e32 v125, 0xffff, v125
	v_mul_lo_u16 v49, v107, 10
	global_load_b128 v[44:47], v42, s[8:9]
	v_mul_lo_u16 v50, v109, 10
	s_clause 0x1
	global_load_b128 v[76:79], v51, s[8:9]
	global_load_b128 v[56:59], v51, s[8:9] offset:16
	v_sub_nc_u16 v49, v162, v49
	v_mul_u32_u24_e32 v217, 0x1e0, v124
	v_mul_u32_u24_e32 v218, 0x1e0, v125
	;; [unrolled: 1-line block ×3, first 2 shown]
	v_lshlrev_b32_e32 v212, 4, v119
	v_and_b32_e32 v111, 0xffff, v49
	v_mul_lo_u16 v49, v110, 10
	v_mul_u32_u24_e32 v151, 0x1e0, v121
	v_lshlrev_b32_e32 v219, 4, v122
	v_lshlrev_b32_e32 v221, 4, v126
	;; [unrolled: 1-line block ×3, first 2 shown]
	v_sub_nc_u16 v49, v161, v49
	v_mad_i32_i24 v206, 0xffffff70, v156, v198
	v_lshlrev_b32_e32 v220, 4, v123
	v_add3_u32 v222, 0, v211, v212
	s_clause 0x2
	global_load_b128 v[68:71], v48, s[8:9] offset:16
	global_load_b128 v[60:63], v48, s[8:9]
	global_load_b128 v[40:43], v42, s[8:9] offset:16
	v_and_b32_e32 v113, 0xffff, v49
	v_sub_nc_u16 v49, v160, v50
	s_delay_alu instid0(VALU_DEP_2) | instskip(NEXT) | instid1(VALU_DEP_2)
	v_lshlrev_b32_e32 v48, 5, v113
	v_and_b32_e32 v112, 0xffff, v49
	global_load_b128 v[64:67], v48, s[8:9]
	v_lshlrev_b32_e32 v72, 5, v112
	s_clause 0x2
	global_load_b128 v[48:51], v48, s[8:9] offset:16
	global_load_b128 v[52:55], v72, s[8:9]
	global_load_b128 v[72:75], v72, s[8:9] offset:16
	ds_load_b128 v[92:95], v196 offset:16000
	ds_load_b128 v[96:99], v196 offset:32000
	;; [unrolled: 1-line block ×7, first 2 shown]
	ds_load_b128 v[131:134], v201
	ds_load_b128 v[135:138], v196 offset:36800
	ds_load_b128 v[143:146], v196 offset:38400
	ds_load_b128 v[139:142], v196 offset:22400
	ds_load_b128 v[147:150], v196 offset:24000
	ds_load_b128 v[168:171], v196 offset:25600
	s_waitcnt vmcnt(19) lgkmcnt(12)
	v_mul_f64 v[172:173], v[94:95], v[6:7]
	s_waitcnt vmcnt(18) lgkmcnt(11)
	v_mul_f64 v[174:175], v[98:99], v[2:3]
	;; [unrolled: 2-line block ×4, first 2 shown]
	v_mul_f64 v[6:7], v[92:93], v[6:7]
	v_mul_f64 v[2:3], v[96:97], v[2:3]
	v_mul_f64 v[14:15], v[84:85], v[14:15]
	v_mul_f64 v[10:11], v[88:89], v[10:11]
	s_waitcnt vmcnt(15) lgkmcnt(8)
	v_mul_f64 v[180:181], v[82:83], v[18:19]
	s_waitcnt vmcnt(14) lgkmcnt(7)
	v_mul_f64 v[182:183], v[102:103], v[22:23]
	v_mul_f64 v[18:19], v[80:81], v[18:19]
	;; [unrolled: 1-line block ×3, first 2 shown]
	s_waitcnt vmcnt(13) lgkmcnt(6)
	v_mul_f64 v[184:185], v[129:130], v[26:27]
	v_mul_f64 v[26:27], v[127:128], v[26:27]
	s_waitcnt vmcnt(12) lgkmcnt(2)
	v_mul_f64 v[119:120], v[141:142], v[34:35]
	s_waitcnt vmcnt(11)
	v_mul_f64 v[186:187], v[137:138], v[30:31]
	v_mul_f64 v[30:31], v[135:136], v[30:31]
	v_fma_f64 v[92:93], v[92:93], v[4:5], v[172:173]
	v_fma_f64 v[96:97], v[96:97], v[0:1], v[174:175]
	;; [unrolled: 1-line block ×4, first 2 shown]
	v_fma_f64 v[94:95], v[94:95], v[4:5], -v[6:7]
	v_fma_f64 v[98:99], v[98:99], v[0:1], -v[2:3]
	;; [unrolled: 1-line block ×4, first 2 shown]
	v_mul_f64 v[34:35], v[139:140], v[34:35]
	v_fma_f64 v[176:177], v[80:81], v[16:17], v[180:181]
	v_fma_f64 v[100:101], v[100:101], v[20:21], v[182:183]
	v_fma_f64 v[178:179], v[82:83], v[16:17], -v[18:19]
	v_fma_f64 v[102:103], v[102:103], v[20:21], -v[22:23]
	ds_load_b128 v[172:175], v196 offset:40000
	s_waitcnt vmcnt(10)
	v_mul_f64 v[121:122], v[145:146], v[38:39]
	v_mul_f64 v[38:39], v[143:144], v[38:39]
	ds_load_b128 v[0:3], v196 offset:41600
	ds_load_b128 v[4:7], v196 offset:27200
	s_waitcnt vmcnt(9) lgkmcnt(4)
	v_mul_f64 v[180:181], v[149:150], v[46:47]
	v_mul_f64 v[46:47], v[147:148], v[46:47]
	ds_load_b128 v[8:11], v196 offset:43200
	ds_load_b128 v[12:15], v196 offset:44800
	v_fma_f64 v[126:127], v[127:128], v[24:25], v[184:185]
	v_fma_f64 v[128:129], v[129:130], v[24:25], -v[26:27]
	s_waitcnt vmcnt(8) lgkmcnt(5)
	v_mul_f64 v[184:185], v[170:171], v[78:79]
	s_waitcnt vmcnt(4) lgkmcnt(4)
	v_mul_f64 v[182:183], v[174:175], v[42:43]
	v_mul_f64 v[42:43], v[172:173], v[42:43]
	v_fma_f64 v[119:120], v[139:140], v[32:33], v[119:120]
	v_fma_f64 v[135:136], v[135:136], v[28:29], v[186:187]
	v_fma_f64 v[137:138], v[137:138], v[28:29], -v[30:31]
	v_mul_f64 v[186:187], v[168:169], v[78:79]
	v_add_f64 v[190:191], v[92:93], v[96:97]
	s_waitcnt lgkmcnt(3)
	v_mul_f64 v[188:189], v[2:3], v[58:59]
	v_add_f64 v[207:208], v[124:125], v[88:89]
	v_mul_f64 v[58:59], v[0:1], v[58:59]
	v_add_f64 v[194:195], v[94:95], v[98:99]
	ds_load_b128 v[16:19], v196 offset:28800
	ds_load_b128 v[20:23], v196 offset:30400
	;; [unrolled: 1-line block ×3, first 2 shown]
	ds_load_b128 v[28:31], v196
	ds_load_b128 v[78:81], v206
	;; [unrolled: 1-line block ×3, first 2 shown]
	v_add_f64 v[139:140], v[86:87], v[90:91]
	v_fma_f64 v[141:142], v[141:142], v[32:33], -v[34:35]
	s_waitcnt lgkmcnt(8)
	v_mul_f64 v[192:193], v[6:7], v[62:63]
	v_add_f64 v[32:33], v[176:177], v[100:101]
	v_mul_f64 v[62:63], v[4:5], v[62:63]
	v_add_f64 v[209:210], v[178:179], v[102:103]
	s_waitcnt lgkmcnt(7)
	v_mul_f64 v[34:35], v[10:11], v[70:71]
	v_mul_f64 v[70:71], v[8:9], v[70:71]
	v_fma_f64 v[121:122], v[143:144], v[36:37], v[121:122]
	v_fma_f64 v[143:144], v[145:146], v[36:37], -v[38:39]
	v_fma_f64 v[145:146], v[147:148], v[44:45], v[180:181]
	v_fma_f64 v[147:148], v[149:150], v[44:45], -v[46:47]
	s_waitcnt vmcnt(3) lgkmcnt(5)
	v_mul_f64 v[36:37], v[18:19], v[66:67]
	s_waitcnt vmcnt(1) lgkmcnt(4)
	v_mul_f64 v[44:45], v[22:23], v[54:55]
	v_mul_f64 v[46:47], v[20:21], v[54:55]
	s_waitcnt vmcnt(0) lgkmcnt(3)
	v_mul_f64 v[54:55], v[26:27], v[74:75]
	v_mul_f64 v[74:75], v[24:25], v[74:75]
	v_mul_f64 v[38:39], v[16:17], v[66:67]
	v_mul_f64 v[66:67], v[14:15], v[50:51]
	v_mul_f64 v[50:51], v[12:13], v[50:51]
	v_fma_f64 v[168:169], v[168:169], v[76:77], v[184:185]
	s_waitcnt lgkmcnt(1)
	v_add_f64 v[180:181], v[80:81], v[86:87]
	v_add_f64 v[86:87], v[86:87], -v[90:91]
	s_waitcnt lgkmcnt(0)
	v_add_f64 v[184:185], v[84:85], v[178:179]
	v_fma_f64 v[149:150], v[172:173], v[40:41], v[182:183]
	v_fma_f64 v[172:173], v[174:175], v[40:41], -v[42:43]
	v_add_f64 v[174:175], v[28:29], v[92:93]
	v_add_f64 v[40:41], v[126:127], v[135:136]
	;; [unrolled: 1-line block ×3, first 2 shown]
	v_fma_f64 v[76:77], v[170:171], v[76:77], -v[186:187]
	v_add_f64 v[170:171], v[30:31], v[94:95]
	v_add_f64 v[182:183], v[78:79], v[124:125]
	v_add_f64 v[94:95], v[94:95], -v[98:99]
	v_fma_f64 v[28:29], v[190:191], -0.5, v[28:29]
	v_fma_f64 v[78:79], v[207:208], -0.5, v[78:79]
	v_add_f64 v[92:93], v[92:93], -v[96:97]
	v_fma_f64 v[30:31], v[194:195], -0.5, v[30:31]
	v_add_f64 v[123:124], v[124:125], -v[88:89]
	v_fma_f64 v[80:81], v[139:140], -0.5, v[80:81]
	v_add_f64 v[186:187], v[82:83], v[176:177]
	v_add_f64 v[139:140], v[178:179], -v[102:103]
	v_fma_f64 v[82:83], v[32:33], -0.5, v[82:83]
	v_add_f64 v[176:177], v[176:177], -v[100:101]
	v_fma_f64 v[84:85], v[209:210], -0.5, v[84:85]
	v_fma_f64 v[178:179], v[0:1], v[56:57], v[188:189]
	v_fma_f64 v[188:189], v[2:3], v[56:57], -v[58:59]
	v_fma_f64 v[190:191], v[4:5], v[60:61], v[192:193]
	v_fma_f64 v[192:193], v[6:7], v[60:61], -v[62:63]
	;; [unrolled: 2-line block ×3, first 2 shown]
	v_add_f64 v[56:57], v[133:134], v[128:129]
	v_add_f64 v[58:59], v[131:132], v[126:127]
	v_add_f64 v[68:69], v[128:129], -v[137:138]
	v_add_f64 v[70:71], v[126:127], -v[135:136]
	v_fma_f64 v[215:216], v[24:25], v[72:73], v[54:55]
	v_fma_f64 v[72:73], v[26:27], v[72:73], -v[74:75]
	v_fma_f64 v[209:210], v[16:17], v[64:65], v[36:37]
	v_fma_f64 v[211:212], v[18:19], v[64:65], -v[38:39]
	;; [unrolled: 2-line block ×3, first 2 shown]
	v_add_f64 v[74:75], v[119:120], v[121:122]
	v_add_f64 v[6:7], v[180:181], v[90:91]
	;; [unrolled: 1-line block ×4, first 2 shown]
	v_fma_f64 v[125:126], v[40:41], -0.5, v[131:132]
	v_fma_f64 v[127:128], v[42:43], -0.5, v[133:134]
	v_fma_f64 v[131:132], v[20:21], v[52:53], v[44:45]
	v_fma_f64 v[133:134], v[22:23], v[52:53], -v[46:47]
	v_add_f64 v[2:3], v[170:171], v[98:99]
	v_add_f64 v[4:5], v[182:183], v[88:89]
	v_fma_f64 v[12:13], v[94:95], s[0:1], v[28:29]
	v_fma_f64 v[16:17], v[94:95], s[24:25], v[28:29]
	v_fma_f64 v[24:25], v[86:87], s[0:1], v[78:79]
	v_fma_f64 v[28:29], v[86:87], s[24:25], v[78:79]
	v_add_f64 v[78:79], v[141:142], v[143:144]
	v_fma_f64 v[14:15], v[92:93], s[24:25], v[30:31]
	v_fma_f64 v[18:19], v[92:93], s[0:1], v[30:31]
	v_fma_f64 v[26:27], v[123:124], s[24:25], v[80:81]
	v_fma_f64 v[30:31], v[123:124], s[0:1], v[80:81]
	;; [unrolled: 5-line block ×3, first 2 shown]
	v_add_f64 v[80:81], v[145:146], v[149:150]
	v_add_f64 v[82:83], v[147:148], v[172:173]
	;; [unrolled: 1-line block ×4, first 2 shown]
	ds_load_b128 v[20:23], v204
	ds_load_b128 v[40:43], v205
	v_add_f64 v[92:93], v[190:191], v[194:195]
	v_add_f64 v[94:95], v[192:193], v[207:208]
	ds_load_b128 v[44:47], v203
	ds_load_b128 v[48:51], v202
	v_add_f64 v[54:55], v[56:57], v[137:138]
	v_add_f64 v[52:53], v[58:59], v[135:136]
	;; [unrolled: 1-line block ×4, first 2 shown]
	v_add3_u32 v123, 0, v218, v219
	v_add3_u32 v124, 0, v151, v220
	ds_load_b128 v[60:63], v200
	ds_load_b128 v[64:67], v199
	s_waitcnt lgkmcnt(0)
	s_barrier
	v_fma_f64 v[56:57], v[68:69], s[0:1], v[125:126]
	v_fma_f64 v[58:59], v[70:71], s[24:25], v[127:128]
	v_add_f64 v[100:101], v[131:132], v[215:216]
	v_add_f64 v[102:103], v[133:134], v[72:73]
	buffer_gl0_inv
	ds_store_b128 v222, v[0:3]
	ds_store_b128 v222, v[12:15] offset:160
	ds_store_b128 v222, v[16:19] offset:320
	ds_store_b128 v123, v[4:7]
	ds_store_b128 v123, v[24:27] offset:160
	ds_store_b128 v123, v[28:31] offset:320
	;; [unrolled: 3-line block ×3, first 2 shown]
	v_add_f64 v[84:85], v[22:23], v[141:142]
	v_add_f64 v[86:87], v[20:21], v[119:120]
	v_fma_f64 v[6:7], v[74:75], -0.5, v[20:21]
	v_add_f64 v[8:9], v[141:142], -v[143:144]
	v_fma_f64 v[10:11], v[78:79], -0.5, v[22:23]
	v_add_f64 v[12:13], v[119:120], -v[121:122]
	v_add_f64 v[14:15], v[42:43], v[147:148]
	v_add_f64 v[16:17], v[40:41], v[145:146]
	v_fma_f64 v[18:19], v[80:81], -0.5, v[40:41]
	v_add_f64 v[20:21], v[147:148], -v[172:173]
	v_fma_f64 v[22:23], v[82:83], -0.5, v[42:43]
	v_add_f64 v[24:25], v[145:146], -v[149:150]
	v_add_f64 v[26:27], v[46:47], v[76:77]
	v_add_f64 v[28:29], v[44:45], v[168:169]
	v_fma_f64 v[30:31], v[88:89], -0.5, v[44:45]
	v_fma_f64 v[34:35], v[90:91], -0.5, v[46:47]
	v_add_f64 v[32:33], v[76:77], -v[188:189]
	v_add_f64 v[36:37], v[168:169], -v[178:179]
	v_add_f64 v[38:39], v[50:51], v[192:193]
	v_add_f64 v[40:41], v[48:49], v[190:191]
	v_fma_f64 v[42:43], v[92:93], -0.5, v[48:49]
	v_fma_f64 v[46:47], v[94:95], -0.5, v[50:51]
	v_add_f64 v[44:45], v[192:193], -v[207:208]
	v_add_f64 v[48:49], v[190:191], -v[194:195]
	v_add3_u32 v123, 0, v217, v221
	v_fma_f64 v[68:69], v[68:69], s[24:25], v[125:126]
	v_fma_f64 v[70:71], v[70:71], s[0:1], v[127:128]
	ds_store_b128 v123, v[52:55]
	ds_store_b128 v123, v[56:59] offset:160
	v_add_f64 v[50:51], v[62:63], v[211:212]
	v_add_f64 v[52:53], v[60:61], v[209:210]
	v_fma_f64 v[74:75], v[100:101], -0.5, v[64:65]
	v_fma_f64 v[76:77], v[102:103], -0.5, v[66:67]
	v_add_f64 v[78:79], v[133:134], -v[72:73]
	v_add_f64 v[80:81], v[131:132], -v[215:216]
	v_fma_f64 v[54:55], v[96:97], -0.5, v[60:61]
	v_fma_f64 v[58:59], v[98:99], -0.5, v[62:63]
	v_add_f64 v[56:57], v[211:212], -v[129:130]
	v_add_f64 v[60:61], v[209:210], -v[213:214]
	v_add_f64 v[2:3], v[84:85], v[143:144]
	v_add_f64 v[0:1], v[86:87], v[121:122]
	;; [unrolled: 1-line block ×4, first 2 shown]
	v_fma_f64 v[4:5], v[8:9], s[0:1], v[6:7]
	v_fma_f64 v[8:9], v[8:9], s[24:25], v[6:7]
	v_fma_f64 v[6:7], v[12:13], s[24:25], v[10:11]
	v_fma_f64 v[10:11], v[12:13], s[0:1], v[10:11]
	v_add_f64 v[14:15], v[14:15], v[172:173]
	v_add_f64 v[12:13], v[16:17], v[149:150]
	v_fma_f64 v[16:17], v[20:21], s[0:1], v[18:19]
	v_fma_f64 v[20:21], v[20:21], s[24:25], v[18:19]
	v_fma_f64 v[18:19], v[24:25], s[24:25], v[22:23]
	v_fma_f64 v[22:23], v[24:25], s[0:1], v[22:23]
	v_add_f64 v[26:27], v[26:27], v[188:189]
	v_add_f64 v[24:25], v[28:29], v[178:179]
	;; [unrolled: 6-line block ×3, first 2 shown]
	v_fma_f64 v[40:41], v[44:45], s[0:1], v[42:43]
	v_fma_f64 v[44:45], v[44:45], s[24:25], v[42:43]
	;; [unrolled: 1-line block ×4, first 2 shown]
	v_mul_u32_u24_e32 v66, 0x1e0, v114
	v_lshlrev_b32_e32 v67, 4, v116
	ds_store_b128 v123, v[68:71] offset:320
	v_add_f64 v[50:51], v[50:51], v[129:130]
	v_add_f64 v[48:49], v[52:53], v[213:214]
	v_mul_u32_u24_e32 v83, 0x1e0, v115
	v_add3_u32 v82, 0, v66, v67
	v_fma_f64 v[68:69], v[78:79], s[24:25], v[74:75]
	v_fma_f64 v[70:71], v[80:81], s[0:1], v[76:77]
	v_lshlrev_b32_e32 v84, 4, v118
	v_fma_f64 v[52:53], v[56:57], s[0:1], v[54:55]
	v_fma_f64 v[56:57], v[56:57], s[24:25], v[54:55]
	;; [unrolled: 1-line block ×4, first 2 shown]
	v_add_f64 v[60:61], v[62:63], v[215:216]
	v_add_f64 v[62:63], v[64:65], v[72:73]
	ds_store_b128 v82, v[0:3]
	ds_store_b128 v82, v[4:7] offset:160
	v_mul_lo_u16 v2, 0x89, v106
	v_fma_f64 v[64:65], v[78:79], s[0:1], v[74:75]
	v_fma_f64 v[66:67], v[80:81], s[24:25], v[76:77]
	v_add3_u32 v0, 0, v83, v84
	v_mul_u32_u24_e32 v1, 0x1e0, v117
	v_lshlrev_b32_e32 v3, 4, v108
	v_lshrrev_b16 v210, 12, v2
	ds_store_b128 v82, v[8:11] offset:320
	ds_store_b128 v0, v[12:15]
	ds_store_b128 v0, v[16:19] offset:160
	ds_store_b128 v0, v[20:23] offset:320
	v_lshlrev_b32_e32 v2, 4, v111
	v_add3_u32 v0, 0, v1, v3
	v_mul_lo_u16 v4, v210, 30
	v_mul_u32_u24_e32 v1, 0x1e0, v107
	ds_store_b128 v0, v[24:27]
	ds_store_b128 v0, v[28:31] offset:160
	ds_store_b128 v0, v[32:35] offset:320
	v_sub_nc_u16 v0, v152, v4
	v_mul_u32_u24_e32 v3, 0x1e0, v110
	v_lshlrev_b32_e32 v5, 4, v113
	v_add3_u32 v1, 0, v1, v2
	v_lshlrev_b32_e32 v4, 4, v112
	v_and_b32_e32 v209, 0xff, v0
	ds_store_b128 v1, v[36:39]
	ds_store_b128 v1, v[40:43] offset:160
	ds_store_b128 v1, v[44:47] offset:320
	v_add3_u32 v2, 0, v3, v5
	v_mul_u32_u24_e32 v3, 0x1e0, v109
	v_mul_u32_u24_e32 v1, 9, v209
	v_and_b32_e32 v210, 0xffff, v210
	s_add_u32 s1, s8, 0xbae0
	s_delay_alu instid0(VALU_DEP_3) | instskip(NEXT) | instid1(VALU_DEP_3)
	v_add3_u32 v0, 0, v3, v4
	v_lshlrev_b32_e32 v1, 4, v1
	ds_store_b128 v2, v[48:51]
	ds_store_b128 v2, v[52:55] offset:160
	ds_store_b128 v2, v[56:59] offset:320
	ds_store_b128 v0, v[60:63]
	ds_store_b128 v0, v[64:67] offset:160
	ds_store_b128 v0, v[68:71] offset:320
	s_waitcnt lgkmcnt(0)
	s_barrier
	buffer_gl0_inv
	s_clause 0x3
	global_load_b128 v[48:51], v1, s[8:9] offset:320
	global_load_b128 v[56:59], v1, s[8:9] offset:336
	;; [unrolled: 1-line block ×4, first 2 shown]
	v_mul_lo_u16 v0, 0x89, v105
	s_clause 0x3
	global_load_b128 v[76:79], v1, s[8:9] offset:384
	global_load_b128 v[72:75], v1, s[8:9] offset:400
	;; [unrolled: 1-line block ×4, first 2 shown]
	v_lshrrev_b16 v207, 12, v0
	global_load_b128 v[108:111], v1, s[8:9] offset:448
	v_mul_lo_u16 v0, v207, 30
	s_delay_alu instid0(VALU_DEP_1) | instskip(NEXT) | instid1(VALU_DEP_1)
	v_sub_nc_u16 v0, v156, v0
	v_and_b32_e32 v208, 0xff, v0
	v_mul_u32_u24_e32 v0, 0x8889, v104
	s_delay_alu instid0(VALU_DEP_2) | instskip(NEXT) | instid1(VALU_DEP_2)
	v_mul_u32_u24_e32 v2, 9, v208
	v_lshrrev_b32_e32 v211, 20, v0
	s_delay_alu instid0(VALU_DEP_2) | instskip(NEXT) | instid1(VALU_DEP_2)
	v_lshlrev_b32_e32 v4, 4, v2
	v_mul_lo_u16 v0, v211, 30
	global_load_b128 v[134:137], v4, s[8:9] offset:336
	v_sub_nc_u16 v0, v167, v0
	s_clause 0x2
	global_load_b128 v[140:143], v4, s[8:9] offset:368
	global_load_b128 v[144:147], v4, s[8:9] offset:400
	;; [unrolled: 1-line block ×3, first 2 shown]
	v_and_b32_e32 v212, 0xffff, v0
	s_delay_alu instid0(VALU_DEP_1) | instskip(NEXT) | instid1(VALU_DEP_1)
	v_mul_u32_u24_e32 v0, 9, v212
	v_lshlrev_b32_e32 v20, 4, v0
	s_clause 0xd
	global_load_b128 v[168:171], v20, s[8:9] offset:336
	global_load_b128 v[176:179], v20, s[8:9] offset:368
	;; [unrolled: 1-line block ×14, first 2 shown]
	ds_load_b128 v[88:91], v201
	ds_load_b128 v[92:95], v203
	;; [unrolled: 1-line block ×3, first 2 shown]
	ds_load_b128 v[118:121], v196 offset:19200
	ds_load_b128 v[84:87], v196 offset:32000
	;; [unrolled: 1-line block ×12, first 2 shown]
	s_waitcnt vmcnt(26) lgkmcnt(14)
	v_mul_f64 v[96:97], v[90:91], v[50:51]
	v_mul_f64 v[50:51], v[88:89], v[50:51]
	s_waitcnt vmcnt(24) lgkmcnt(12)
	v_mul_f64 v[106:107], v[104:105], v[66:67]
	v_mul_f64 v[66:67], v[102:103], v[66:67]
	;; [unrolled: 1-line block ×4, first 2 shown]
	s_waitcnt vmcnt(23) lgkmcnt(11)
	v_mul_f64 v[112:113], v[120:121], v[62:63]
	v_mul_f64 v[62:63], v[118:119], v[62:63]
	s_waitcnt vmcnt(22) lgkmcnt(9)
	v_mul_f64 v[130:131], v[126:127], v[78:79]
	v_mul_f64 v[78:79], v[124:125], v[78:79]
	;; [unrolled: 3-line block ×5, first 2 shown]
	v_fma_f64 v[116:117], v[88:89], v[48:49], v[96:97]
	v_fma_f64 v[114:115], v[90:91], v[48:49], -v[50:51]
	v_fma_f64 v[102:103], v[102:103], v[64:65], v[106:107]
	v_fma_f64 v[96:97], v[104:105], v[64:65], -v[66:67]
	s_waitcnt vmcnt(18) lgkmcnt(3)
	v_mul_f64 v[64:65], v[194:195], v[110:111]
	v_mul_f64 v[66:67], v[192:193], v[110:111]
	ds_load_b128 v[48:51], v196 offset:36800
	v_fma_f64 v[98:99], v[92:93], v[56:57], v[98:99]
	v_fma_f64 v[100:101], v[94:95], v[56:57], -v[58:59]
	ds_load_b128 v[225:228], v196 offset:40000
	ds_load_b128 v[56:59], v196 offset:44800
	;; [unrolled: 1-line block ×5, first 2 shown]
	v_fma_f64 v[128:129], v[118:119], v[60:61], v[112:113]
	v_fma_f64 v[122:123], v[120:121], v[60:61], -v[62:63]
	s_waitcnt vmcnt(17) lgkmcnt(7)
	v_mul_f64 v[112:113], v[223:224], v[136:137]
	v_mul_f64 v[136:137], v[221:222], v[136:137]
	s_waitcnt vmcnt(16)
	v_mul_f64 v[235:236], v[182:183], v[142:143]
	v_mul_f64 v[142:143], v[180:181], v[142:143]
	v_fma_f64 v[118:119], v[124:125], v[76:77], v[130:131]
	v_fma_f64 v[120:121], v[126:127], v[76:77], -v[78:79]
	s_waitcnt vmcnt(15)
	v_mul_f64 v[237:238], v[219:220], v[146:147]
	v_mul_f64 v[146:147], v[217:218], v[146:147]
	v_fma_f64 v[132:133], v[172:173], v[72:73], v[132:133]
	v_fma_f64 v[130:131], v[174:175], v[72:73], -v[74:75]
	v_fma_f64 v[126:127], v[184:185], v[68:69], v[138:139]
	v_fma_f64 v[124:125], v[186:187], v[68:69], -v[70:71]
	s_waitcnt vmcnt(12)
	v_mul_f64 v[239:240], v[215:216], v[178:179]
	s_waitcnt lgkmcnt(4)
	v_mul_f64 v[172:173], v[227:228], v[150:151]
	v_mul_f64 v[150:151], v[225:226], v[150:151]
	;; [unrolled: 1-line block ×3, first 2 shown]
	ds_load_b128 v[60:63], v196 offset:16000
	s_waitcnt lgkmcnt(3)
	v_mul_f64 v[174:175], v[231:232], v[170:171]
	v_mul_f64 v[170:171], v[229:230], v[170:171]
	s_waitcnt vmcnt(11)
	v_mul_f64 v[184:185], v[86:87], v[42:43]
	v_mul_f64 v[186:187], v[84:85], v[42:43]
	v_fma_f64 v[106:107], v[188:189], v[80:81], v[233:234]
	v_fma_f64 v[104:105], v[190:191], v[80:81], -v[82:83]
	ds_load_b128 v[80:83], v196 offset:25600
	ds_load_b128 v[68:71], v196 offset:8000
	;; [unrolled: 1-line block ×4, first 2 shown]
	s_waitcnt vmcnt(10) lgkmcnt(5)
	v_mul_f64 v[188:189], v[94:95], v[38:39]
	v_mul_f64 v[190:191], v[92:93], v[38:39]
	v_fma_f64 v[110:111], v[192:193], v[108:109], v[64:65]
	v_fma_f64 v[108:109], v[194:195], v[108:109], -v[66:67]
	s_waitcnt vmcnt(8)
	v_mul_f64 v[192:193], v[90:91], v[46:47]
	v_mul_f64 v[194:195], v[88:89], v[46:47]
	ds_load_b128 v[64:67], v196 offset:46400
	v_fma_f64 v[42:43], v[221:222], v[134:135], v[112:113]
	v_fma_f64 v[112:113], v[223:224], v[134:135], -v[136:137]
	v_fma_f64 v[138:139], v[180:181], v[140:141], v[235:236]
	v_fma_f64 v[140:141], v[182:183], v[140:141], -v[142:143]
	s_waitcnt lgkmcnt(5)
	v_mul_f64 v[142:143], v[62:63], v[2:3]
	s_waitcnt vmcnt(7) lgkmcnt(4)
	v_mul_f64 v[46:47], v[82:83], v[34:35]
	v_fma_f64 v[136:137], v[217:218], v[144:145], v[237:238]
	v_fma_f64 v[134:135], v[219:220], v[144:145], -v[146:147]
	v_mul_f64 v[144:145], v[60:61], v[2:3]
	v_mul_f64 v[146:147], v[80:81], v[34:35]
	s_waitcnt vmcnt(2) lgkmcnt(1)
	v_mul_f64 v[180:181], v[74:75], v[10:11]
	v_mul_f64 v[182:183], v[72:73], v[10:11]
	v_fma_f64 v[38:39], v[225:226], v[148:149], v[172:173]
	v_fma_f64 v[2:3], v[227:228], v[148:149], -v[150:151]
	v_mul_f64 v[148:149], v[54:55], v[30:31]
	v_mul_f64 v[150:151], v[52:53], v[30:31]
	v_fma_f64 v[30:31], v[229:230], v[168:169], v[174:175]
	v_fma_f64 v[34:35], v[231:232], v[168:169], -v[170:171]
	v_mul_f64 v[168:169], v[58:59], v[26:27]
	v_mul_f64 v[170:171], v[56:57], v[26:27]
	;; [unrolled: 1-line block ×4, first 2 shown]
	v_fma_f64 v[26:27], v[213:214], v[176:177], v[239:240]
	v_fma_f64 v[18:19], v[215:216], v[176:177], -v[178:179]
	v_mul_f64 v[176:177], v[78:79], v[14:15]
	v_mul_f64 v[178:179], v[76:77], v[14:15]
	v_fma_f64 v[84:85], v[84:85], v[40:41], v[184:185]
	v_fma_f64 v[40:41], v[86:87], v[40:41], -v[186:187]
	ds_load_b128 v[184:187], v196
	s_waitcnt vmcnt(1)
	v_mul_f64 v[213:214], v[50:51], v[6:7]
	v_mul_f64 v[215:216], v[48:49], v[6:7]
	s_waitcnt vmcnt(0) lgkmcnt(1)
	v_mul_f64 v[217:218], v[66:67], v[22:23]
	v_mul_f64 v[219:220], v[64:65], v[22:23]
	v_fma_f64 v[6:7], v[88:89], v[44:45], v[192:193]
	v_fma_f64 v[10:11], v[90:91], v[44:45], -v[194:195]
	v_fma_f64 v[44:45], v[92:93], v[36:37], v[188:189]
	v_fma_f64 v[22:23], v[94:95], v[36:37], -v[190:191]
	ds_load_b128 v[188:191], v206
	ds_load_b128 v[192:195], v157
	s_waitcnt lgkmcnt(0)
	v_add_f64 v[227:228], v[42:43], -v[138:139]
	v_add_f64 v[231:232], v[112:113], -v[140:141]
	v_fma_f64 v[86:87], v[60:61], v[0:1], v[142:143]
	v_fma_f64 v[90:91], v[80:81], v[32:33], v[46:47]
	s_barrier
	v_add_f64 v[46:47], v[140:141], v[134:135]
	v_fma_f64 v[60:61], v[62:63], v[0:1], -v[144:145]
	v_fma_f64 v[92:93], v[82:83], v[32:33], -v[146:147]
	v_fma_f64 v[72:73], v[72:73], v[8:9], v[180:181]
	v_add_f64 v[32:33], v[138:139], v[136:137]
	v_add_f64 v[180:181], v[122:123], -v[100:101]
	v_add_f64 v[36:37], v[42:43], v[38:39]
	v_add_f64 v[146:147], v[186:187], v[100:101]
	v_fma_f64 v[94:95], v[52:53], v[28:29], v[148:149]
	v_fma_f64 v[88:89], v[54:55], v[28:29], -v[150:151]
	v_add_f64 v[52:53], v[106:107], -v[132:133]
	v_add_f64 v[148:149], v[100:101], -v[122:123]
	v_fma_f64 v[0:1], v[56:57], v[24:25], v[168:169]
	v_fma_f64 v[14:15], v[58:59], v[24:25], -v[170:171]
	v_fma_f64 v[82:83], v[68:69], v[16:17], v[172:173]
	v_fma_f64 v[80:81], v[70:71], v[16:17], -v[174:175]
	v_fma_f64 v[68:69], v[74:75], v[8:9], -v[182:183]
	v_add_f64 v[24:25], v[100:101], v[104:105]
	v_fma_f64 v[54:55], v[76:77], v[12:13], v[176:177]
	v_fma_f64 v[28:29], v[78:79], v[12:13], -v[178:179]
	v_add_f64 v[56:57], v[26:27], v[84:85]
	v_add_f64 v[150:151], v[104:105], -v[130:131]
	v_add_f64 v[168:169], v[102:103], -v[118:119]
	v_fma_f64 v[74:75], v[48:49], v[4:5], v[213:214]
	v_fma_f64 v[70:71], v[50:51], v[4:5], -v[215:216]
	v_fma_f64 v[4:5], v[64:65], v[20:21], v[217:218]
	v_fma_f64 v[8:9], v[66:67], v[20:21], -v[219:220]
	v_add_f64 v[20:21], v[122:123], v[130:131]
	v_add_f64 v[48:49], v[112:113], v[2:3]
	v_add_f64 v[50:51], v[98:99], -v[128:129]
	v_add_f64 v[58:59], v[30:31], v[6:7]
	v_add_f64 v[66:67], v[18:19], v[40:41]
	;; [unrolled: 1-line block ×3, first 2 shown]
	v_add_f64 v[170:171], v[110:111], -v[126:127]
	v_add_f64 v[172:173], v[96:97], -v[120:121]
	;; [unrolled: 1-line block ×10, first 2 shown]
	v_add_f64 v[221:222], v[188:189], v[42:43]
	v_add_f64 v[223:224], v[190:191], v[112:113]
	;; [unrolled: 1-line block ×4, first 2 shown]
	v_fma_f64 v[142:143], v[32:33], -0.5, v[188:189]
	v_fma_f64 v[188:189], v[36:37], -0.5, v[188:189]
	;; [unrolled: 1-line block ×3, first 2 shown]
	v_add_f64 v[46:47], v[60:61], -v[92:93]
	v_add_f64 v[144:145], v[184:185], v[98:99]
	v_add_f64 v[146:147], v[146:147], v[122:123]
	;; [unrolled: 1-line block ×3, first 2 shown]
	v_add_f64 v[122:123], v[122:123], -v[130:131]
	v_add_f64 v[229:230], v[38:39], -v[136:137]
	v_add_f64 v[233:234], v[2:3], -v[134:135]
	v_add_f64 v[241:242], v[86:87], -v[90:91]
	v_add_f64 v[243:244], v[0:1], -v[94:95]
	v_add_f64 v[36:37], v[148:149], v[150:151]
	v_add_f64 v[148:149], v[134:135], -v[2:3]
	v_add_f64 v[150:151], v[90:91], -v[86:87]
	v_add_f64 v[16:17], v[98:99], v[106:107]
	v_add_f64 v[98:99], v[98:99], -v[106:107]
	v_add_f64 v[100:101], v[100:101], -v[104:105]
	v_fma_f64 v[239:240], v[20:21], -0.5, v[186:187]
	v_fma_f64 v[186:187], v[24:25], -0.5, v[186:187]
	v_fma_f64 v[76:77], v[48:49], -0.5, v[190:191]
	v_add_f64 v[48:49], v[14:15], -v[88:89]
	v_fma_f64 v[20:21], v[56:57], -0.5, v[192:193]
	v_fma_f64 v[62:63], v[58:59], -0.5, v[192:193]
	;; [unrolled: 1-line block ×4, first 2 shown]
	v_add_f64 v[190:191], v[138:139], -v[42:43]
	v_add_f64 v[192:193], v[136:137], -v[38:39]
	v_add_f64 v[32:33], v[50:51], v[52:53]
	v_add_f64 v[194:195], v[140:141], -v[112:113]
	v_add_f64 v[56:57], v[168:169], v[170:171]
	v_add_f64 v[168:169], v[172:173], v[174:175]
	v_add_f64 v[170:171], v[94:95], -v[0:1]
	v_add_f64 v[50:51], v[176:177], v[178:179]
	v_add_f64 v[172:173], v[92:93], -v[60:61]
	;; [unrolled: 2-line block ×3, first 2 shown]
	v_add_f64 v[176:177], v[30:31], -v[26:27]
	v_add_f64 v[180:181], v[6:7], -v[84:85]
	v_add_f64 v[66:67], v[213:214], v[215:216]
	v_add_f64 v[178:179], v[217:218], v[219:220]
	v_add_f64 v[182:183], v[34:35], -v[18:19]
	v_add_f64 v[213:214], v[10:11], -v[40:41]
	v_add_f64 v[144:145], v[144:145], v[128:129]
	v_add_f64 v[128:129], v[128:129], -v[132:133]
	v_add_f64 v[130:131], v[146:147], v[130:131]
	v_add_f64 v[146:147], v[96:97], v[108:109]
	v_add_f64 v[215:216], v[54:55], -v[72:73]
	v_add_f64 v[219:220], v[4:5], -v[74:75]
	v_fma_f64 v[237:238], v[12:13], -0.5, v[184:185]
	v_add_f64 v[12:13], v[227:228], v[229:230]
	v_add_f64 v[112:113], v[112:113], -v[2:3]
	v_add_f64 v[42:43], v[42:43], -v[38:39]
	v_fma_f64 v[184:185], v[16:17], -0.5, v[184:185]
	v_add_f64 v[78:79], v[241:242], v[243:244]
	v_add_f64 v[16:17], v[231:232], v[233:234]
	v_fma_f64 v[227:228], v[98:99], s[18:19], v[239:240]
	buffer_gl0_inv
	v_add_f64 v[217:218], v[46:47], v[48:49]
	v_add_f64 v[46:47], v[190:191], v[192:193]
	v_add_f64 v[190:191], v[28:29], -v[68:69]
	v_add_f64 v[48:49], v[194:195], v[148:149]
	v_add_f64 v[148:149], v[8:9], -v[70:71]
	v_add_f64 v[192:193], v[40:41], -v[10:11]
	v_add_f64 v[150:151], v[150:151], v[170:171]
	v_add_f64 v[170:171], v[26:27], -v[30:31]
	v_add_f64 v[30:31], v[30:31], -v[6:7]
	v_add_f64 v[172:173], v[172:173], v[174:175]
	v_add_f64 v[174:175], v[84:85], -v[6:7]
	v_add_f64 v[176:177], v[176:177], v[180:181]
	v_add_f64 v[180:181], v[18:19], -v[34:35]
	v_add_f64 v[34:35], v[34:35], -v[10:11]
	v_add_f64 v[182:183], v[182:183], v[213:214]
	v_add_f64 v[213:214], v[72:73], -v[54:55]
	v_add_f64 v[132:133], v[144:145], v[132:133]
	v_add_f64 v[144:145], v[102:103], v[110:111]
	v_fma_f64 v[146:147], v[146:147], -0.5, v[114:115]
	v_add_f64 v[104:105], v[130:131], v[104:105]
	v_add_f64 v[194:195], v[215:216], v[219:220]
	;; [unrolled: 1-line block ×4, first 2 shown]
	v_add_f64 v[138:139], v[138:139], -v[136:137]
	v_add_f64 v[140:141], v[140:141], -v[134:135]
	v_add_f64 v[221:222], v[225:226], v[26:27]
	v_add_f64 v[223:224], v[235:236], v[18:19]
	v_add_f64 v[225:226], v[26:27], -v[84:85]
	v_add_f64 v[26:27], v[68:69], v[70:71]
	v_mul_u32_u24_e32 v235, 0x12c0, v210
	v_lshlrev_b32_e32 v236, 4, v209
	v_add_f64 v[148:149], v[190:191], v[148:149]
	v_add_f64 v[190:191], v[74:75], -v[4:5]
	v_fma_f64 v[209:210], v[30:31], s[18:19], v[24:25]
	v_add_f64 v[170:171], v[170:171], v[174:175]
	v_add_f64 v[174:175], v[68:69], -v[28:29]
	v_add_f64 v[180:181], v[180:181], v[192:193]
	v_add_f64 v[192:193], v[70:71], -v[8:9]
	v_add_f64 v[106:107], v[132:133], v[106:107]
	v_fma_f64 v[144:145], v[144:145], -0.5, v[116:117]
	v_add_f64 v[136:137], v[215:216], v[136:137]
	v_add_f64 v[215:216], v[92:93], v[88:89]
	;; [unrolled: 1-line block ×5, first 2 shown]
	v_add_f64 v[221:222], v[18:19], -v[40:41]
	v_add_f64 v[18:19], v[28:29], v[8:9]
	v_add_f64 v[223:224], v[223:224], v[40:41]
	v_fma_f64 v[26:27], v[26:27], -0.5, v[80:81]
	v_add_f64 v[190:191], v[213:214], v[190:191]
	v_add_f64 v[213:214], v[118:119], v[126:127]
	;; [unrolled: 1-line block ×5, first 2 shown]
	v_fma_f64 v[215:216], v[215:216], -0.5, v[22:23]
	v_fma_f64 v[38:39], v[42:43], s[12:13], v[64:65]
	v_fma_f64 v[219:220], v[219:220], -0.5, v[22:23]
	v_add_f64 v[22:23], v[22:23], v[60:61]
	v_add_f64 v[60:61], v[60:61], -v[14:15]
	v_fma_f64 v[18:19], v[18:19], -0.5, v[80:81]
	v_add_f64 v[80:81], v[80:81], v[28:29]
	v_add_f64 v[28:29], v[28:29], -v[8:9]
	v_fma_f64 v[64:65], v[42:43], s[18:19], v[64:65]
	v_add_f64 v[134:135], v[134:135], v[2:3]
	v_add_f64 v[84:85], v[84:85], v[6:7]
	v_fma_f64 v[213:214], v[213:214], -0.5, v[116:117]
	v_add_f64 v[116:117], v[116:117], v[102:103]
	v_fma_f64 v[192:193], v[192:193], -0.5, v[114:115]
	v_add_f64 v[114:115], v[114:115], v[96:97]
	v_add_f64 v[96:97], v[96:97], -v[108:109]
	v_fma_f64 v[229:230], v[138:139], s[10:11], v[38:39]
	v_add_f64 v[22:23], v[22:23], v[92:93]
	v_add_f64 v[92:93], v[92:93], -v[88:89]
	v_add_f64 v[80:81], v[80:81], v[68:69]
	v_add_f64 v[68:69], v[68:69], -v[70:71]
	v_fma_f64 v[64:65], v[138:139], s[16:17], v[64:65]
	v_add_f64 v[116:117], v[116:117], v[118:119]
	v_add_f64 v[118:119], v[118:119], -v[126:127]
	v_add_f64 v[114:115], v[114:115], v[120:121]
	v_add_f64 v[120:121], v[120:121], -v[124:125]
	v_add_f64 v[88:89], v[22:23], v[88:89]
	v_add_f64 v[22:23], v[54:55], v[4:5]
	;; [unrolled: 1-line block ×3, first 2 shown]
	v_fma_f64 v[80:81], v[128:129], s[18:19], v[186:187]
	v_add_f64 v[116:117], v[116:117], v[126:127]
	v_add_f64 v[126:127], v[90:91], v[94:95]
	v_fma_f64 v[132:133], v[118:119], s[18:19], v[146:147]
	v_fma_f64 v[146:147], v[118:119], s[12:13], v[146:147]
	v_add_f64 v[114:115], v[114:115], v[124:125]
	v_add_f64 v[124:125], v[86:87], v[0:1]
	;; [unrolled: 1-line block ×3, first 2 shown]
	v_fma_f64 v[22:23], v[22:23], -0.5, v[82:83]
	v_fma_f64 v[80:81], v[98:99], s[10:11], v[80:81]
	v_fma_f64 v[126:127], v[126:127], -0.5, v[44:45]
	v_add_f64 v[108:109], v[114:115], v[108:109]
	v_fma_f64 v[124:125], v[124:125], -0.5, v[44:45]
	v_add_f64 v[44:45], v[44:45], v[86:87]
	v_fma_f64 v[114:115], v[100:101], s[18:19], v[237:238]
	v_add_f64 v[86:87], v[86:87], -v[0:1]
	v_add_f64 v[6:7], v[134:135], -v[14:15]
	v_fma_f64 v[80:81], v[52:53], s[4:5], v[80:81]
	v_fma_f64 v[2:3], v[60:61], s[18:19], v[126:127]
	;; [unrolled: 1-line block ×3, first 2 shown]
	v_add_f64 v[44:45], v[44:45], v[90:91]
	v_add_f64 v[90:91], v[90:91], -v[94:95]
	v_fma_f64 v[114:115], v[122:123], s[16:17], v[114:115]
	v_fma_f64 v[2:3], v[92:93], s[16:17], v[2:3]
	s_delay_alu instid0(VALU_DEP_4) | instskip(SKIP_1) | instid1(VALU_DEP_3)
	v_add_f64 v[94:95], v[44:45], v[94:95]
	v_add_f64 v[44:45], v[72:73], v[74:75]
	v_fma_f64 v[2:3], v[78:79], s[4:5], v[2:3]
	s_delay_alu instid0(VALU_DEP_3) | instskip(NEXT) | instid1(VALU_DEP_3)
	v_add_f64 v[94:95], v[94:95], v[0:1]
	v_fma_f64 v[40:41], v[44:45], -0.5, v[82:83]
	v_add_f64 v[44:45], v[82:83], v[54:55]
	v_add_f64 v[82:83], v[102:103], -v[110:111]
	v_fma_f64 v[102:103], v[122:123], s[18:19], v[184:185]
	v_add_f64 v[110:111], v[116:117], v[110:111]
	v_fma_f64 v[116:117], v[120:121], s[12:13], v[144:145]
	v_fma_f64 v[144:145], v[120:121], s[18:19], v[144:145]
	v_add_f64 v[54:55], v[54:55], -v[4:5]
	v_add_f64 v[0:1], v[136:137], v[94:95]
	v_add_f64 v[44:45], v[44:45], v[72:73]
	v_add_f64 v[72:73], v[72:73], -v[74:75]
	v_fma_f64 v[130:131], v[82:83], s[12:13], v[192:193]
	v_fma_f64 v[132:133], v[82:83], s[10:11], v[132:133]
	;; [unrolled: 1-line block ×3, first 2 shown]
	v_add_f64 v[74:75], v[44:45], v[74:75]
	v_fma_f64 v[44:45], v[122:123], s[12:13], v[184:185]
	v_fma_f64 v[184:185], v[128:129], s[12:13], v[186:187]
	;; [unrolled: 1-line block ×10, first 2 shown]
	v_add_f64 v[74:75], v[74:75], v[4:5]
	v_fma_f64 v[44:45], v[100:101], s[16:17], v[44:45]
	v_fma_f64 v[100:101], v[100:101], s[10:11], v[102:103]
	;; [unrolled: 1-line block ×23, first 2 shown]
	v_add_f64 v[4:5], v[136:137], -v[94:95]
	v_fma_f64 v[44:45], v[50:51], s[4:5], v[44:45]
	v_fma_f64 v[50:51], v[50:51], s[4:5], v[100:101]
	;; [unrolled: 1-line block ×24, first 2 shown]
	v_mul_f64 v[126:127], v[132:133], s[18:19]
	v_mul_f64 v[132:133], v[132:133], s[4:5]
	v_fma_f64 v[66:67], v[66:67], s[4:5], v[96:97]
	v_mul_f64 v[96:97], v[82:83], s[18:19]
	v_mul_f64 v[82:83], v[82:83], s[20:21]
	v_fma_f64 v[54:55], v[54:55], s[16:17], v[18:19]
	v_fma_f64 v[26:27], v[72:73], s[16:17], v[26:27]
	;; [unrolled: 1-line block ×6, first 2 shown]
	v_add_f64 v[24:25], v[104:105], -v[108:109]
	v_fma_f64 v[52:53], v[52:53], s[4:5], v[98:99]
	v_add_f64 v[18:19], v[106:107], v[110:111]
	v_fma_f64 v[112:113], v[46:47], s[4:5], v[112:113]
	v_fma_f64 v[102:103], v[36:37], s[4:5], v[102:103]
	;; [unrolled: 1-line block ×11, first 2 shown]
	v_mul_f64 v[120:121], v[118:119], s[16:17]
	v_mul_f64 v[184:185], v[130:131], s[16:17]
	;; [unrolled: 1-line block ×3, first 2 shown]
	v_fma_f64 v[231:232], v[30:31], s[10:11], v[42:43]
	v_fma_f64 v[215:216], v[34:35], s[18:19], v[20:21]
	v_mul_f64 v[118:119], v[118:119], s[22:23]
	v_fma_f64 v[168:169], v[34:35], s[16:17], v[168:169]
	v_fma_f64 v[62:63], v[34:35], s[10:11], v[62:63]
	;; [unrolled: 1-line block ×13, first 2 shown]
	v_add_f64 v[20:21], v[104:105], v[108:109]
	v_fma_f64 v[104:105], v[174:175], s[4:5], v[54:55]
	v_fma_f64 v[78:79], v[78:79], s[4:5], v[92:93]
	;; [unrolled: 1-line block ×3, first 2 shown]
	v_add_f64 v[22:23], v[106:107], -v[110:111]
	v_fma_f64 v[76:77], v[48:49], s[4:5], v[76:77]
	v_add3_u32 v192, 0, v235, v236
	v_fma_f64 v[42:43], v[217:218], s[4:5], v[213:214]
	v_fma_f64 v[106:107], v[150:151], s[4:5], v[227:228]
	;; [unrolled: 1-line block ×16, first 2 shown]
	v_mul_f64 v[142:143], v[58:59], s[18:19]
	v_mul_f64 v[148:149], v[58:59], s[4:5]
	v_mul_f64 v[150:151], v[86:87], s[18:19]
	v_mul_f64 v[86:87], v[86:87], s[20:21]
	v_mul_f64 v[178:179], v[38:39], s[16:17]
	v_mul_f64 v[184:185], v[38:39], s[14:15]
	v_add_f64 v[36:37], v[80:81], v[116:117]
	v_add_f64 v[34:35], v[44:45], v[126:127]
	v_add_f64 v[38:39], v[44:45], -v[126:127]
	v_add_f64 v[44:45], v[52:53], v[66:67]
	v_add_f64 v[52:53], v[52:53], -v[66:67]
	v_fma_f64 v[66:67], v[221:222], s[10:11], v[188:189]
	v_fma_f64 v[126:127], v[48:49], s[4:5], v[144:145]
	;; [unrolled: 1-line block ×3, first 2 shown]
	v_mul_f64 v[128:129], v[42:43], s[16:17]
	v_mul_f64 v[132:133], v[42:43], s[14:15]
	v_add_f64 v[42:43], v[50:51], v[96:97]
	v_fma_f64 v[110:111], v[194:195], s[4:5], v[30:31]
	v_add_f64 v[50:51], v[50:51], -v[96:97]
	v_fma_f64 v[68:69], v[194:195], s[4:5], v[68:69]
	v_mul_f64 v[172:173], v[40:41], s[16:17]
	v_mul_f64 v[174:175], v[40:41], s[22:23]
	;; [unrolled: 1-line block ×4, first 2 shown]
	v_add_f64 v[40:41], v[80:81], -v[116:117]
	v_add_f64 v[54:55], v[82:83], v[100:101]
	v_add_f64 v[58:59], v[82:83], -v[100:101]
	v_mul_f64 v[80:81], v[104:105], s[18:19]
	v_mul_f64 v[82:83], v[104:105], s[20:21]
	v_add_f64 v[26:27], v[90:91], v[138:139]
	v_add_f64 v[30:31], v[90:91], -v[138:139]
	v_fma_f64 v[90:91], v[225:226], s[16:17], v[209:210]
	v_mul_f64 v[96:97], v[92:93], s[16:17]
	v_mul_f64 v[92:93], v[92:93], s[22:23]
	v_add_f64 v[28:29], v[102:103], v[130:131]
	v_add_f64 v[32:33], v[102:103], -v[130:131]
	v_add_f64 v[100:101], v[70:71], v[8:9]
	v_fma_f64 v[102:103], v[12:13], s[4:5], v[186:187]
	v_fma_f64 v[104:105], v[16:17], s[4:5], v[229:230]
	v_add_f64 v[56:57], v[98:99], v[118:119]
	v_add_f64 v[60:61], v[98:99], -v[118:119]
	v_fma_f64 v[116:117], v[106:107], s[4:5], v[142:143]
	v_fma_f64 v[106:107], v[106:107], s[12:13], v[148:149]
	;; [unrolled: 1-line block ×8, first 2 shown]
	v_add_f64 v[98:99], v[223:224], v[10:11]
	ds_store_b128 v192, v[18:21]
	ds_store_b128 v192, v[26:29] offset:480
	ds_store_b128 v192, v[34:37] offset:960
	;; [unrolled: 1-line block ×3, first 2 shown]
	v_fma_f64 v[70:71], v[2:3], s[14:15], v[128:129]
	v_fma_f64 v[88:89], v[2:3], s[10:11], v[132:133]
	;; [unrolled: 1-line block ×18, first 2 shown]
	v_add_f64 v[2:3], v[134:135], v[14:15]
	v_add_f64 v[34:35], v[118:119], v[116:117]
	;; [unrolled: 1-line block ×3, first 2 shown]
	v_add_f64 v[68:69], v[76:77], -v[86:87]
	ds_store_b128 v192, v[54:57] offset:1920
	ds_store_b128 v192, v[22:25] offset:2400
	v_add_f64 v[8:9], v[84:85], v[74:75]
	v_add_f64 v[12:13], v[84:85], -v[74:75]
	v_add_f64 v[42:43], v[118:119], -v[116:117]
	v_add_f64 v[48:49], v[76:77], v[86:87]
	v_add_f64 v[44:45], v[126:127], -v[106:107]
	v_add_f64 v[10:11], v[98:99], v[100:101]
	v_add_f64 v[14:15], v[98:99], -v[100:101]
	v_and_b32_e32 v24, 0xffff, v207
	v_lshlrev_b32_e32 v25, 4, v208
	s_delay_alu instid0(VALU_DEP_2)
	v_mul_u32_u24_e32 v24, 0x12c0, v24
	v_add_f64 v[16:17], v[102:103], v[70:71]
	v_add_f64 v[18:19], v[104:105], v[88:89]
	v_add_f64 v[26:27], v[102:103], -v[70:71]
	v_add_f64 v[28:29], v[104:105], -v[88:89]
	;; [unrolled: 1-line block ×3, first 2 shown]
	v_add_f64 v[64:65], v[130:131], v[78:79]
	v_add_f64 v[72:73], v[130:131], -v[78:79]
	v_add_f64 v[22:23], v[124:125], -v[110:111]
	;; [unrolled: 1-line block ×3, first 2 shown]
	v_add_f64 v[46:47], v[112:113], v[128:129]
	v_add_f64 v[80:81], v[144:145], v[114:115]
	;; [unrolled: 1-line block ×3, first 2 shown]
	v_add_f64 v[70:71], v[108:109], -v[132:133]
	v_add_f64 v[82:83], v[146:147], v[150:151]
	v_add_f64 v[84:85], v[148:149], v[122:123]
	v_add_f64 v[54:55], v[120:121], -v[142:143]
	v_add_f64 v[56:57], v[144:145], -v[114:115]
	v_add_f64 v[62:63], v[108:109], v[132:133]
	v_add_f64 v[86:87], v[168:169], v[96:97]
	;; [unrolled: 1-line block ×5, first 2 shown]
	v_add_f64 v[90:91], v[146:147], -v[150:151]
	v_add_f64 v[92:93], v[148:149], -v[122:123]
	;; [unrolled: 1-line block ×4, first 2 shown]
	v_add3_u32 v24, 0, v24, v25
	ds_store_b128 v192, v[30:33] offset:2880
	ds_store_b128 v192, v[38:41] offset:3360
	;; [unrolled: 1-line block ×4, first 2 shown]
	ds_store_b128 v24, v[0:3]
	ds_store_b128 v24, v[16:19] offset:480
	v_mul_u32_u24_e32 v0, 0x12c0, v211
	v_lshlrev_b32_e32 v1, 4, v212
	ds_store_b128 v24, v[34:37] offset:960
	ds_store_b128 v24, v[46:49] offset:1440
	;; [unrolled: 1-line block ×4, first 2 shown]
	v_add3_u32 v0, 0, v0, v1
	v_mul_u32_u24_e32 v1, 9, v152
	ds_store_b128 v24, v[26:29] offset:2880
	ds_store_b128 v24, v[42:45] offset:3360
	;; [unrolled: 1-line block ×4, first 2 shown]
	ds_store_b128 v0, v[8:11]
	ds_store_b128 v0, v[74:77] offset:480
	ds_store_b128 v0, v[78:81] offset:960
	;; [unrolled: 1-line block ×5, first 2 shown]
	v_lshlrev_b32_e32 v1, 4, v1
	ds_store_b128 v0, v[20:23] offset:2880
	ds_store_b128 v0, v[54:57] offset:3360
	;; [unrolled: 1-line block ×4, first 2 shown]
	s_waitcnt lgkmcnt(0)
	s_barrier
	v_add_co_u32 v2, s0, s8, v1
	s_delay_alu instid0(VALU_DEP_1) | instskip(SKIP_2) | instid1(VALU_DEP_1)
	v_add_co_ci_u32_e64 v3, null, s9, 0, s0
	buffer_gl0_inv
	v_add_co_u32 v20, s0, 0x1000, v2
	v_add_co_ci_u32_e64 v21, s0, 0, v3, s0
	v_add_co_u32 v0, s0, 0x1220, v2
	s_delay_alu instid0(VALU_DEP_1)
	v_add_co_ci_u32_e64 v1, s0, 0, v3, s0
	s_clause 0x4
	global_load_b128 v[108:111], v[20:21], off offset:544
	global_load_b128 v[104:107], v[0:1], off offset:16
	;; [unrolled: 1-line block ×5, first 2 shown]
	v_mov_b32_e32 v169, 0
	v_mul_i32_i24_e32 v168, 9, v156
	v_add_co_u32 v0, s0, 0x1260, v2
	s_delay_alu instid0(VALU_DEP_1) | instskip(NEXT) | instid1(VALU_DEP_3)
	v_add_co_ci_u32_e64 v1, s0, 0, v3, s0
	v_lshlrev_b64 v[22:23], 4, v[168:169]
	v_mul_i32_i24_e32 v168, 9, v167
	s_clause 0x2
	global_load_b128 v[8:11], v[0:1], off offset:16
	global_load_b128 v[4:7], v[0:1], off offset:32
	;; [unrolled: 1-line block ×3, first 2 shown]
	v_add_co_u32 v52, s0, s8, v22
	s_delay_alu instid0(VALU_DEP_1) | instskip(SKIP_1) | instid1(VALU_DEP_3)
	v_add_co_ci_u32_e64 v53, s0, s9, v23, s0
	v_lshlrev_b64 v[28:29], 4, v[168:169]
	v_add_co_u32 v56, s0, 0x1220, v52
	s_delay_alu instid0(VALU_DEP_1) | instskip(SKIP_2) | instid1(VALU_DEP_1)
	v_add_co_ci_u32_e64 v57, s0, 0, v53, s0
	global_load_b128 v[20:23], v[20:21], off offset:672
	v_add_co_u32 v58, s0, s8, v28
	v_add_co_ci_u32_e64 v59, s0, s9, v29, s0
	global_load_b128 v[28:31], v[56:57], off offset:16
	v_add_co_u32 v64, s0, 0x1220, v58
	s_delay_alu instid0(VALU_DEP_1) | instskip(SKIP_4) | instid1(VALU_DEP_1)
	v_add_co_ci_u32_e64 v65, s0, 0, v59, s0
	s_clause 0x1
	global_load_b128 v[32:35], v[56:57], off offset:48
	global_load_b128 v[48:51], v[64:65], off offset:16
	v_add_co_u32 v66, s0, 0x1260, v52
	v_add_co_ci_u32_e64 v67, s0, 0, v53, s0
	v_add_co_u32 v68, s0, 0x1260, v58
	s_delay_alu instid0(VALU_DEP_1)
	v_add_co_ci_u32_e64 v69, s0, 0, v59, s0
	v_add_co_u32 v70, s0, 0x1000, v52
	s_clause 0x3
	global_load_b128 v[44:47], v[66:67], off offset:16
	global_load_b128 v[40:43], v[66:67], off offset:48
	global_load_b128 v[36:39], v[64:65], off offset:48
	global_load_b128 v[96:99], v[68:69], off offset:16
	v_add_co_ci_u32_e64 v71, s0, 0, v53, s0
	v_add_co_u32 v100, s0, 0x1000, v58
	s_delay_alu instid0(VALU_DEP_1)
	v_add_co_ci_u32_e64 v101, s0, 0, v59, s0
	s_clause 0xa
	global_load_b128 v[52:55], v[70:71], off offset:544
	global_load_b128 v[60:63], v[56:57], off offset:32
	;; [unrolled: 1-line block ×11, first 2 shown]
	ds_load_b128 v[176:179], v201
	ds_load_b128 v[180:183], v203
	;; [unrolled: 1-line block ×3, first 2 shown]
	ds_load_b128 v[188:191], v196 offset:19200
	ds_load_b128 v[112:115], v196 offset:32000
	;; [unrolled: 1-line block ×13, first 2 shown]
	s_waitcnt vmcnt(26) lgkmcnt(15)
	v_mul_f64 v[209:210], v[176:177], v[110:111]
	v_mul_f64 v[207:208], v[178:179], v[110:111]
	s_waitcnt vmcnt(25) lgkmcnt(14)
	v_mul_f64 v[211:212], v[182:183], v[106:107]
	v_mul_f64 v[213:214], v[180:181], v[106:107]
	;; [unrolled: 3-line block ×7, first 2 shown]
	v_fma_f64 v[10:11], v[178:179], v[108:109], -v[209:210]
	s_waitcnt vmcnt(19) lgkmcnt(6)
	v_mul_f64 v[178:179], v[140:141], v[2:3]
	v_fma_f64 v[14:15], v[176:177], v[108:109], v[207:208]
	ds_load_b128 v[106:109], v196 offset:36800
	v_mul_f64 v[176:177], v[142:143], v[2:3]
	v_fma_f64 v[2:3], v[180:181], v[104:105], v[211:212]
	v_fma_f64 v[6:7], v[182:183], v[104:105], -v[213:214]
	ds_load_b128 v[180:183], v196 offset:44800
	v_fma_f64 v[18:19], v[184:185], v[16:17], v[215:216]
	v_fma_f64 v[16:17], v[186:187], v[16:17], -v[217:218]
	s_waitcnt vmcnt(17) lgkmcnt(5)
	v_mul_f64 v[211:212], v[138:139], v[30:31]
	v_mul_f64 v[213:214], v[136:137], v[30:31]
	v_fma_f64 v[30:31], v[188:189], v[12:13], v[219:220]
	s_waitcnt vmcnt(16)
	v_mul_f64 v[215:216], v[126:127], v[34:35]
	v_mul_f64 v[217:218], v[124:125], v[34:35]
	s_waitcnt vmcnt(15) lgkmcnt(3)
	v_mul_f64 v[219:220], v[130:131], v[50:51]
	v_mul_f64 v[207:208], v[134:135], v[22:23]
	;; [unrolled: 1-line block ×3, first 2 shown]
	ds_load_b128 v[184:187], v196 offset:40000
	v_fma_f64 v[22:23], v[190:191], v[12:13], -v[221:222]
	ds_load_b128 v[188:191], v196 offset:41600
	v_mul_f64 v[221:222], v[128:129], v[50:51]
	v_fma_f64 v[26:27], v[192:193], v[24:25], v[223:224]
	v_fma_f64 v[12:13], v[194:195], v[24:25], -v[225:226]
	s_waitcnt vmcnt(14)
	v_mul_f64 v[192:193], v[122:123], v[46:47]
	v_mul_f64 v[194:195], v[120:121], v[46:47]
	v_fma_f64 v[104:105], v[144:145], v[4:5], v[170:171]
	v_fma_f64 v[46:47], v[146:147], v[4:5], -v[172:173]
	s_waitcnt vmcnt(12)
	v_mul_f64 v[227:228], v[118:119], v[38:39]
	v_mul_f64 v[229:230], v[116:117], v[38:39]
	s_waitcnt vmcnt(11)
	v_mul_f64 v[231:232], v[112:113], v[98:99]
	v_fma_f64 v[110:111], v[148:149], v[8:9], v[110:111]
	v_fma_f64 v[50:51], v[150:151], v[8:9], -v[174:175]
	ds_load_b128 v[144:147], v196 offset:6400
	ds_load_b128 v[148:151], v196 offset:16000
	;; [unrolled: 1-line block ×3, first 2 shown]
	s_waitcnt lgkmcnt(4)
	v_mul_f64 v[223:224], v[186:187], v[42:43]
	v_mul_f64 v[225:226], v[184:185], v[42:43]
	v_fma_f64 v[4:5], v[142:143], v[0:1], -v[178:179]
	v_mul_f64 v[178:179], v[114:115], v[98:99]
	v_fma_f64 v[24:25], v[140:141], v[0:1], v[176:177]
	ds_load_b128 v[140:143], v196 offset:8000
	v_fma_f64 v[34:35], v[136:137], v[28:29], v[211:212]
	v_fma_f64 v[38:39], v[138:139], v[28:29], -v[213:214]
	v_fma_f64 v[98:99], v[124:125], v[32:33], v[215:216]
	v_fma_f64 v[124:125], v[126:127], v[32:33], -v[217:218]
	v_fma_f64 v[32:33], v[128:129], v[48:49], v[219:220]
	s_waitcnt vmcnt(7) lgkmcnt(4)
	v_mul_f64 v[126:127], v[190:191], v[94:95]
	v_mul_f64 v[128:129], v[188:189], v[94:95]
	v_fma_f64 v[8:9], v[132:133], v[20:21], v[207:208]
	v_fma_f64 v[0:1], v[134:135], v[20:21], -v[209:210]
	ds_load_b128 v[132:135], v196 offset:17600
	ds_load_b128 v[136:139], v196 offset:27200
	;; [unrolled: 1-line block ×3, first 2 shown]
	s_waitcnt lgkmcnt(6)
	v_mul_f64 v[207:208], v[146:147], v[54:55]
	v_mul_f64 v[209:210], v[144:145], v[54:55]
	s_waitcnt lgkmcnt(5)
	v_mul_f64 v[211:212], v[150:151], v[62:63]
	v_mul_f64 v[213:214], v[148:149], v[62:63]
	v_fma_f64 v[42:43], v[130:131], v[48:49], -v[221:222]
	s_waitcnt lgkmcnt(3)
	v_mul_f64 v[48:49], v[142:143], v[58:59]
	v_mul_f64 v[130:131], v[140:141], v[58:59]
	v_fma_f64 v[120:121], v[120:121], v[44:45], v[192:193]
	v_fma_f64 v[94:95], v[122:123], v[44:45], -v[194:195]
	s_waitcnt vmcnt(5)
	v_mul_f64 v[192:193], v[172:173], v[86:87]
	v_mul_f64 v[194:195], v[170:171], v[86:87]
	s_waitcnt vmcnt(4)
	v_mul_f64 v[215:216], v[102:103], v[82:83]
	v_mul_f64 v[82:83], v[100:101], v[82:83]
	v_fma_f64 v[62:63], v[116:117], v[36:37], v[227:228]
	v_fma_f64 v[54:55], v[118:119], v[36:37], -v[229:230]
	s_waitcnt vmcnt(2)
	v_mul_f64 v[221:222], v[108:109], v[74:75]
	v_fma_f64 v[28:29], v[184:185], v[40:41], v[223:224]
	v_fma_f64 v[20:21], v[186:187], v[40:41], -v[225:226]
	s_waitcnt lgkmcnt(2)
	v_mul_f64 v[44:45], v[134:135], v[90:91]
	v_mul_f64 v[122:123], v[132:133], v[90:91]
	s_waitcnt lgkmcnt(1)
	v_mul_f64 v[217:218], v[138:139], v[78:79]
	v_mul_f64 v[219:220], v[136:137], v[78:79]
	;; [unrolled: 1-line block ×3, first 2 shown]
	s_waitcnt vmcnt(1)
	v_mul_f64 v[225:226], v[182:183], v[70:71]
	v_mul_f64 v[227:228], v[180:181], v[70:71]
	v_fma_f64 v[70:71], v[112:113], v[96:97], v[178:179]
	s_waitcnt vmcnt(0) lgkmcnt(0)
	v_mul_f64 v[178:179], v[176:177], v[66:67]
	v_mul_f64 v[229:230], v[174:175], v[66:67]
	v_fma_f64 v[58:59], v[114:115], v[96:97], -v[231:232]
	ds_load_b128 v[116:119], v196
	v_fma_f64 v[36:37], v[188:189], v[92:93], v[126:127]
	v_fma_f64 v[40:41], v[190:191], v[92:93], -v[128:129]
	v_add_f64 v[188:189], v[16:17], -v[12:13]
	v_add_f64 v[190:191], v[0:1], -v[46:47]
	ds_load_b128 v[126:129], v206
	ds_load_b128 v[184:187], v157
	s_waitcnt lgkmcnt(0)
	v_fma_f64 v[114:115], v[144:145], v[52:53], v[207:208]
	v_fma_f64 v[96:97], v[146:147], v[52:53], -v[209:210]
	v_fma_f64 v[66:67], v[148:149], v[60:61], v[211:212]
	v_fma_f64 v[60:61], v[150:151], v[60:61], -v[213:214]
	v_add_f64 v[148:149], v[2:3], -v[30:31]
	v_fma_f64 v[90:91], v[140:141], v[56:57], v[48:49]
	v_fma_f64 v[86:87], v[142:143], v[56:57], -v[130:131]
	v_add_f64 v[130:131], v[6:7], v[4:5]
	v_add_f64 v[150:151], v[24:25], -v[110:111]
	v_fma_f64 v[112:113], v[170:171], v[84:85], v[192:193]
	v_fma_f64 v[84:85], v[172:173], v[84:85], -v[194:195]
	v_fma_f64 v[92:93], v[100:101], v[80:81], v[215:216]
	v_add_f64 v[170:171], v[6:7], -v[22:23]
	v_add_f64 v[172:173], v[4:5], -v[50:51]
	;; [unrolled: 1-line block ×6, first 2 shown]
	v_fma_f64 v[78:79], v[132:133], v[88:89], v[44:45]
	v_fma_f64 v[74:75], v[134:135], v[88:89], -v[122:123]
	v_fma_f64 v[88:89], v[102:103], v[80:81], -v[82:83]
	v_fma_f64 v[82:83], v[136:137], v[76:77], v[217:218]
	v_fma_f64 v[80:81], v[138:139], v[76:77], -v[219:220]
	v_fma_f64 v[76:77], v[106:107], v[72:73], v[221:222]
	v_fma_f64 v[72:73], v[108:109], v[72:73], -v[223:224]
	v_fma_f64 v[56:57], v[180:181], v[68:69], v[225:226]
	v_fma_f64 v[52:53], v[182:183], v[68:69], -v[227:228]
	v_fma_f64 v[48:49], v[174:175], v[64:65], v[178:179]
	v_fma_f64 v[44:45], v[176:177], v[64:65], -v[229:230]
	v_add_f64 v[106:107], v[30:31], v[110:111]
	v_add_f64 v[108:109], v[2:3], v[24:25]
	;; [unrolled: 1-line block ×3, first 2 shown]
	v_add_f64 v[174:175], v[18:19], -v[26:27]
	v_add_f64 v[176:177], v[30:31], -v[2:3]
	;; [unrolled: 1-line block ×10, first 2 shown]
	v_add_f64 v[132:133], v[98:99], v[120:121]
	v_add_f64 v[134:135], v[34:35], v[28:29]
	;; [unrolled: 1-line block ×10, first 2 shown]
	v_fma_f64 v[130:131], v[130:131], -0.5, v[118:119]
	v_add_f64 v[68:69], v[126:127], v[34:35]
	v_add_f64 v[100:101], v[128:129], v[38:39]
	;; [unrolled: 1-line block ×4, first 2 shown]
	v_add_f64 v[221:222], v[66:67], -v[112:113]
	v_add_f64 v[225:226], v[60:61], -v[84:85]
	;; [unrolled: 1-line block ×4, first 2 shown]
	s_barrier
	buffer_gl0_inv
	v_add_f64 v[223:224], v[56:57], -v[92:93]
	v_add_f64 v[227:228], v[52:53], -v[88:89]
	v_fma_f64 v[229:230], v[106:107], -0.5, v[116:117]
	v_fma_f64 v[231:232], v[108:109], -0.5, v[116:117]
	;; [unrolled: 1-line block ×3, first 2 shown]
	v_add_f64 v[106:107], v[148:149], v[150:151]
	v_add_f64 v[148:149], v[112:113], -v[66:67]
	v_add_f64 v[108:109], v[170:171], v[172:173]
	v_add_f64 v[150:151], v[92:93], -v[56:57]
	;; [unrolled: 2-line block ×10, first 2 shown]
	v_add_f64 v[215:216], v[74:75], -v[80:81]
	v_add_f64 v[219:220], v[44:45], -v[72:73]
	v_fma_f64 v[132:133], v[132:133], -0.5, v[126:127]
	v_fma_f64 v[126:127], v[134:135], -0.5, v[126:127]
	;; [unrolled: 1-line block ×4, first 2 shown]
	v_add_f64 v[136:137], v[98:99], -v[34:35]
	v_add_f64 v[138:139], v[120:121], -v[28:29]
	v_fma_f64 v[140:141], v[140:141], -0.5, v[184:185]
	v_fma_f64 v[142:143], v[142:143], -0.5, v[184:185]
	;; [unrolled: 1-line block ×4, first 2 shown]
	v_add_f64 v[184:185], v[124:125], -v[38:39]
	v_add_f64 v[186:187], v[94:95], -v[20:21]
	v_add_f64 v[102:103], v[102:103], v[30:31]
	v_add_f64 v[30:31], v[30:31], -v[110:111]
	v_add_f64 v[64:65], v[64:65], v[22:23]
	v_add_f64 v[68:69], v[68:69], v[98:99]
	;; [unrolled: 1-line block ×3, first 2 shown]
	v_add_f64 v[22:23], v[22:23], -v[50:51]
	v_add_f64 v[98:99], v[98:99], -v[120:121]
	v_add_f64 v[148:149], v[148:149], v[150:151]
	v_add_f64 v[150:151], v[54:55], -v[42:43]
	v_add_f64 v[124:125], v[124:125], -v[94:95]
	v_add_f64 v[213:214], v[221:222], v[223:224]
	v_add_f64 v[170:171], v[170:171], v[174:175]
	v_add_f64 v[174:175], v[62:63], -v[32:33]
	v_add_f64 v[221:222], v[233:234], v[62:63]
	v_add_f64 v[223:224], v[235:236], v[54:55]
	;; [unrolled: 1-line block ×3, first 2 shown]
	v_add_f64 v[180:181], v[70:71], -v[36:37]
	v_add_f64 v[62:63], v[62:63], -v[70:71]
	;; [unrolled: 1-line block ×3, first 2 shown]
	v_add_f64 v[188:189], v[188:189], v[192:193]
	v_add_f64 v[192:193], v[58:59], -v[40:41]
	v_add_f64 v[42:43], v[42:43], -v[40:41]
	;; [unrolled: 1-line block ×3, first 2 shown]
	v_add_f64 v[207:208], v[207:208], v[211:212]
	v_add_f64 v[211:212], v[82:83], -v[78:79]
	v_add_f64 v[215:216], v[215:216], v[219:220]
	v_add_f64 v[219:220], v[76:77], -v[48:49]
	v_add_f64 v[34:35], v[34:35], -v[28:29]
	;; [unrolled: 1-line block ×3, first 2 shown]
	v_add_f64 v[217:218], v[225:226], v[227:228]
	v_fma_f64 v[225:226], v[6:7], s[18:19], v[229:230]
	v_add_f64 v[136:137], v[136:137], v[138:139]
	v_add_f64 v[138:139], v[26:27], v[104:105]
	v_fma_f64 v[227:228], v[6:7], s[12:13], v[229:230]
	v_add_f64 v[184:185], v[184:185], v[186:187]
	v_add_f64 v[186:187], v[18:19], v[8:9]
	;; [unrolled: 1-line block ×11, first 2 shown]
	v_add_f64 v[221:222], v[72:73], -v[44:45]
	v_add_f64 v[58:59], v[223:224], v[58:59]
	v_add_f64 v[174:175], v[174:175], v[180:181]
	;; [unrolled: 1-line block ×7, first 2 shown]
	v_fma_f64 v[138:139], v[138:139], -0.5, v[14:15]
	v_fma_f64 v[186:187], v[186:187], -0.5, v[14:15]
	v_add_f64 v[14:15], v[14:15], v[18:19]
	v_fma_f64 v[110:111], v[110:111], -0.5, v[114:115]
	v_add_f64 v[18:19], v[18:19], -v[8:9]
	v_fma_f64 v[64:65], v[64:65], -0.5, v[96:97]
	v_add_f64 v[50:51], v[50:51], v[4:5]
	v_fma_f64 v[120:121], v[120:121], -0.5, v[90:91]
	v_add_f64 v[24:25], v[102:103], v[24:25]
	v_fma_f64 v[100:101], v[100:101], -0.5, v[86:87]
	v_fma_f64 v[102:103], v[2:3], s[12:13], v[122:123]
	v_fma_f64 v[122:123], v[2:3], s[18:19], v[122:123]
	v_add_f64 v[28:29], v[68:69], v[28:29]
	v_fma_f64 v[68:69], v[124:125], s[12:13], v[126:127]
	v_add_f64 v[36:37], v[70:71], v[36:37]
	;; [unrolled: 2-line block ×3, first 2 shown]
	v_add_f64 v[20:21], v[94:95], v[20:21]
	v_fma_f64 v[180:181], v[180:181], -0.5, v[10:11]
	v_fma_f64 v[94:95], v[98:99], s[18:19], v[128:129]
	v_fma_f64 v[128:129], v[98:99], s[12:13], v[128:129]
	v_fma_f64 v[192:193], v[192:193], -0.5, v[10:11]
	v_add_f64 v[10:11], v[10:11], v[16:17]
	v_add_f64 v[16:17], v[16:17], -v[0:1]
	v_fma_f64 v[219:220], v[219:220], -0.5, v[114:115]
	v_add_f64 v[114:115], v[114:115], v[66:67]
	v_add_f64 v[66:67], v[66:67], -v[56:57]
	v_add_f64 v[14:15], v[14:15], v[26:27]
	v_add_f64 v[26:27], v[26:27], -v[104:105]
	v_fma_f64 v[102:103], v[30:31], s[10:11], v[102:103]
	v_fma_f64 v[122:123], v[30:31], s[16:17], v[122:123]
	;; [unrolled: 1-line block ×6, first 2 shown]
	v_add_f64 v[10:11], v[10:11], v[12:13]
	v_add_f64 v[12:13], v[12:13], -v[46:47]
	v_add_f64 v[114:115], v[114:115], v[112:113]
	v_add_f64 v[112:113], v[112:113], -v[92:93]
	v_fma_f64 v[58:59], v[66:67], s[12:13], v[64:65]
	v_fma_f64 v[64:65], v[66:67], s[18:19], v[64:65]
	v_add_f64 v[14:15], v[14:15], v[104:105]
	v_add_f64 v[104:105], v[60:61], v[52:53]
	v_fma_f64 v[4:5], v[26:27], s[18:19], v[192:193]
	v_fma_f64 v[192:193], v[26:27], s[12:13], v[192:193]
	;; [unrolled: 1-line block ×5, first 2 shown]
	v_add_f64 v[10:11], v[10:11], v[46:47]
	v_add_f64 v[46:47], v[82:83], v[76:77]
	;; [unrolled: 1-line block ×4, first 2 shown]
	v_fma_f64 v[64:65], v[112:113], s[16:17], v[64:65]
	v_add_f64 v[8:9], v[14:15], v[8:9]
	v_fma_f64 v[104:105], v[104:105], -0.5, v[96:97]
	v_add_f64 v[96:97], v[96:97], v[60:61]
	v_fma_f64 v[14:15], v[16:17], s[18:19], v[138:139]
	v_add_f64 v[60:61], v[60:61], -v[52:53]
	v_fma_f64 v[138:139], v[16:17], s[12:13], v[138:139]
	v_fma_f64 v[4:5], v[18:19], s[10:11], v[4:5]
	v_fma_f64 v[18:19], v[18:19], s[16:17], v[192:193]
	v_fma_f64 v[223:224], v[172:173], s[4:5], v[223:224]
	v_add_f64 v[10:11], v[10:11], v[0:1]
	v_fma_f64 v[46:47], v[46:47], -0.5, v[90:91]
	v_add_f64 v[90:91], v[90:91], v[78:79]
	v_add_f64 v[78:79], v[78:79], -v[48:49]
	v_fma_f64 v[0:1], v[12:13], s[12:13], v[186:187]
	v_fma_f64 v[186:187], v[12:13], s[18:19], v[186:187]
	v_add_f64 v[56:57], v[92:93], v[56:57]
	v_fma_f64 v[114:115], v[114:115], -0.5, v[86:87]
	v_add_f64 v[86:87], v[86:87], v[74:75]
	v_fma_f64 v[92:93], v[38:39], s[18:19], v[132:133]
	v_fma_f64 v[132:133], v[38:39], s[12:13], v[132:133]
	;; [unrolled: 1-line block ×4, first 2 shown]
	v_add_f64 v[96:97], v[96:97], v[84:85]
	v_add_f64 v[84:85], v[84:85], -v[88:89]
	v_fma_f64 v[104:105], v[112:113], s[12:13], v[104:105]
	v_fma_f64 v[14:15], v[12:13], s[16:17], v[14:15]
	;; [unrolled: 1-line block ×5, first 2 shown]
	v_add_f64 v[90:91], v[90:91], v[82:83]
	v_add_f64 v[82:83], v[82:83], -v[76:77]
	v_fma_f64 v[229:230], v[16:17], s[16:17], v[0:1]
	v_fma_f64 v[186:187], v[16:17], s[10:11], v[186:187]
	;; [unrolled: 1-line block ×4, first 2 shown]
	v_add_f64 v[86:87], v[86:87], v[80:81]
	v_fma_f64 v[180:181], v[22:23], s[16:17], v[225:226]
	v_fma_f64 v[225:226], v[22:23], s[10:11], v[227:228]
	;; [unrolled: 1-line block ×3, first 2 shown]
	v_mul_f64 v[146:147], v[223:224], s[14:15]
	v_fma_f64 v[92:93], v[124:125], s[16:17], v[92:93]
	v_fma_f64 v[124:125], v[124:125], s[10:11], v[132:133]
	;; [unrolled: 1-line block ×4, first 2 shown]
	v_add_f64 v[88:89], v[96:97], v[88:89]
	v_add_f64 v[96:97], v[80:81], -v[74:75]
	v_add_f64 v[80:81], v[80:81], -v[72:73]
	;; [unrolled: 1-line block ×3, first 2 shown]
	v_fma_f64 v[66:67], v[66:67], s[16:17], v[104:105]
	v_fma_f64 v[126:127], v[116:117], s[4:5], v[14:15]
	v_add_f64 v[76:77], v[90:91], v[76:77]
	v_fma_f64 v[90:91], v[22:23], s[18:19], v[231:232]
	v_add_f64 v[72:73], v[86:87], v[72:73]
	v_fma_f64 v[86:87], v[22:23], s[12:13], v[231:232]
	v_fma_f64 v[22:23], v[32:33], s[12:13], v[144:145]
	;; [unrolled: 1-line block ×5, first 2 shown]
	v_add_f64 v[52:53], v[88:89], v[52:53]
	v_add_f64 v[96:97], v[96:97], v[221:222]
	v_fma_f64 v[221:222], v[30:31], s[18:19], v[130:131]
	v_fma_f64 v[130:131], v[30:31], s[12:13], v[130:131]
	;; [unrolled: 1-line block ×9, first 2 shown]
	v_mul_f64 v[128:129], v[223:224], s[16:17]
	v_fma_f64 v[46:47], v[74:75], s[12:13], v[46:47]
	v_fma_f64 v[142:143], v[54:55], s[18:19], v[142:143]
	v_add_f64 v[48:49], v[76:77], v[48:49]
	v_fma_f64 v[90:91], v[6:7], s[10:11], v[90:91]
	v_fma_f64 v[76:77], v[84:85], s[12:13], v[110:111]
	;; [unrolled: 1-line block ×3, first 2 shown]
	v_add_f64 v[44:45], v[72:73], v[44:45]
	v_fma_f64 v[86:87], v[6:7], s[16:17], v[86:87]
	v_fma_f64 v[6:7], v[78:79], s[12:13], v[100:101]
	;; [unrolled: 1-line block ×5, first 2 shown]
	v_add_f64 v[14:15], v[20:21], -v[52:53]
	v_fma_f64 v[221:222], v[2:3], s[10:11], v[221:222]
	v_fma_f64 v[130:131], v[2:3], s[16:17], v[130:131]
	;; [unrolled: 1-line block ×9, first 2 shown]
	v_add_f64 v[12:13], v[28:29], -v[56:57]
	v_fma_f64 v[46:47], v[80:81], s[10:11], v[46:47]
	v_fma_f64 v[42:43], v[42:43], s[10:11], v[142:143]
	v_add_f64 v[16:17], v[36:37], v[48:49]
	v_fma_f64 v[76:77], v[60:61], s[16:17], v[76:77]
	v_fma_f64 v[60:61], v[60:61], s[10:11], v[110:111]
	;; [unrolled: 1-line block ×3, first 2 shown]
	v_add_f64 v[4:5], v[24:25], -v[8:9]
	v_fma_f64 v[104:105], v[82:83], s[10:11], v[6:7]
	v_fma_f64 v[82:83], v[82:83], s[16:17], v[100:101]
	;; [unrolled: 1-line block ×4, first 2 shown]
	v_add_f64 v[0:1], v[24:25], v[8:9]
	v_fma_f64 v[24:25], v[170:171], s[4:5], v[70:71]
	v_add_f64 v[8:9], v[28:29], v[56:57]
	v_fma_f64 v[28:29], v[170:171], s[4:5], v[66:67]
	v_fma_f64 v[84:85], v[84:85], s[10:11], v[219:220]
	v_add_f64 v[6:7], v[50:51], -v[10:11]
	v_fma_f64 v[80:81], v[62:63], s[10:11], v[22:23]
	v_add_f64 v[22:23], v[40:41], -v[44:45]
	v_fma_f64 v[70:71], v[182:183], s[4:5], v[229:230]
	v_fma_f64 v[112:113], v[78:79], s[10:11], v[2:3]
	;; [unrolled: 1-line block ×7, first 2 shown]
	v_add_f64 v[2:3], v[50:51], v[10:11]
	v_fma_f64 v[50:51], v[217:218], s[4:5], v[64:65]
	v_add_f64 v[10:11], v[20:21], v[52:53]
	v_fma_f64 v[52:53], v[106:107], s[4:5], v[180:181]
	v_fma_f64 v[64:65], v[108:109], s[4:5], v[102:103]
	v_add_f64 v[18:19], v[40:41], v[44:45]
	v_add_f64 v[20:21], v[36:37], -v[48:49]
	v_fma_f64 v[36:37], v[118:119], s[4:5], v[86:87]
	v_fma_f64 v[48:49], v[118:119], s[4:5], v[90:91]
	;; [unrolled: 1-line block ×4, first 2 shown]
	v_mul_f64 v[118:119], v[30:31], s[16:17]
	v_fma_f64 v[40:41], v[178:179], s[4:5], v[221:222]
	v_fma_f64 v[76:77], v[148:149], s[4:5], v[76:77]
	;; [unrolled: 1-line block ×3, first 2 shown]
	v_mul_f64 v[102:103], v[110:111], s[18:19]
	v_fma_f64 v[54:55], v[54:55], s[10:11], v[140:141]
	v_fma_f64 v[62:63], v[62:63], s[16:17], v[144:145]
	;; [unrolled: 1-line block ×4, first 2 shown]
	v_mul_f64 v[104:105], v[110:111], s[4:5]
	v_fma_f64 v[110:111], v[126:127], s[14:15], v[128:129]
	v_fma_f64 v[82:83], v[215:216], s[4:5], v[82:83]
	;; [unrolled: 1-line block ×3, first 2 shown]
	v_mul_f64 v[128:129], v[134:135], s[16:17]
	v_mul_f64 v[138:139], v[24:25], s[4:5]
	;; [unrolled: 1-line block ×3, first 2 shown]
	v_fma_f64 v[84:85], v[213:214], s[4:5], v[84:85]
	v_fma_f64 v[100:101], v[207:208], s[4:5], v[100:101]
	;; [unrolled: 1-line block ×8, first 2 shown]
	v_mul_f64 v[126:127], v[30:31], s[22:23]
	v_fma_f64 v[78:79], v[178:179], s[4:5], v[130:131]
	v_mul_f64 v[96:97], v[26:27], s[18:19]
	v_mul_f64 v[116:117], v[26:27], s[20:21]
	;; [unrolled: 1-line block ×7, first 2 shown]
	v_fma_f64 v[114:115], v[211:212], s[4:5], v[114:115]
	v_fma_f64 v[120:121], v[176:177], s[4:5], v[120:121]
	;; [unrolled: 1-line block ×4, first 2 shown]
	v_mul_f64 v[172:173], v[56:57], s[16:17]
	v_mul_f64 v[56:57], v[56:57], s[14:15]
	v_add_f64 v[24:25], v[52:53], v[110:111]
	v_add_f64 v[28:29], v[52:53], -v[110:111]
	v_fma_f64 v[52:53], v[32:33], s[10:11], v[227:228]
	v_fma_f64 v[32:33], v[32:33], s[16:17], v[58:59]
	;; [unrolled: 1-line block ×3, first 2 shown]
	v_mul_f64 v[74:75], v[82:83], s[16:17]
	v_mul_f64 v[82:83], v[82:83], s[22:23]
	v_fma_f64 v[70:71], v[70:71], s[12:13], v[104:105]
	v_fma_f64 v[104:105], v[106:107], s[4:5], v[225:226]
	;; [unrolled: 1-line block ×4, first 2 shown]
	v_mul_f64 v[178:179], v[66:67], s[18:19]
	v_mul_f64 v[66:67], v[66:67], s[4:5]
	v_add_f64 v[26:27], v[64:65], v[112:113]
	v_add_f64 v[30:31], v[64:65], -v[112:113]
	v_mul_f64 v[64:65], v[44:45], s[18:19]
	v_mul_f64 v[44:45], v[44:45], s[20:21]
	v_fma_f64 v[96:97], v[86:87], s[20:21], v[96:97]
	v_fma_f64 v[86:87], v[86:87], s[12:13], v[116:117]
	;; [unrolled: 1-line block ×22, first 2 shown]
	v_add_f64 v[32:33], v[36:37], v[102:103]
	v_add_f64 v[34:35], v[40:41], v[70:71]
	v_add_f64 v[38:39], v[40:41], -v[70:71]
	v_add_f64 v[36:37], v[36:37], -v[102:103]
	v_fma_f64 v[138:139], v[114:115], s[4:5], v[178:179]
	v_fma_f64 v[114:115], v[114:115], s[12:13], v[66:67]
	v_add_f64 v[52:53], v[104:105], -v[108:109]
	s_addc_u32 s4, s9, 0
	v_fma_f64 v[146:147], v[58:59], s[20:21], v[64:65]
	v_fma_f64 v[148:149], v[58:59], s[12:13], v[44:45]
	v_add_f64 v[40:41], v[48:49], v[96:97]
	v_add_f64 v[42:43], v[78:79], v[86:87]
	v_add_f64 v[44:45], v[48:49], -v[96:97]
	v_add_f64 v[48:49], v[104:105], v[108:109]
	v_add_f64 v[50:51], v[106:107], v[90:91]
	v_add_f64 v[46:47], v[78:79], -v[86:87]
	v_add_f64 v[54:55], v[106:107], -v[90:91]
	v_add_f64 v[56:57], v[92:93], v[110:111]
	v_add_f64 v[58:59], v[88:89], v[72:73]
	;; [unrolled: 1-line block ×4, first 2 shown]
	v_add_f64 v[62:63], v[88:89], -v[72:73]
	v_add_f64 v[72:73], v[116:117], v[122:123]
	v_add_f64 v[74:75], v[118:119], v[126:127]
	;; [unrolled: 1-line block ×4, first 2 shown]
	v_add_f64 v[60:61], v[92:93], -v[110:111]
	v_add_f64 v[68:69], v[68:69], -v[112:113]
	;; [unrolled: 1-line block ×7, first 2 shown]
	v_add_f64 v[88:89], v[120:121], v[134:135]
	v_add_f64 v[90:91], v[136:137], v[100:101]
	v_add_f64 v[94:95], v[136:137], -v[100:101]
	v_add_f64 v[104:105], v[150:151], v[172:173]
	v_add_f64 v[106:107], v[170:171], v[174:175]
	v_add_f64 v[92:93], v[120:121], -v[134:135]
	v_add_f64 v[116:117], v[150:151], -v[172:173]
	;; [unrolled: 1-line block ×3, first 2 shown]
	s_mov_b32 s5, exec_lo
	v_add_f64 v[96:97], v[132:133], v[138:139]
	v_add_f64 v[98:99], v[140:141], v[114:115]
	v_add_f64 v[108:109], v[132:133], -v[138:139]
	v_add_f64 v[110:111], v[140:141], -v[114:115]
	v_add_f64 v[100:101], v[142:143], v[146:147]
	v_add_f64 v[102:103], v[144:145], v[148:149]
	v_add_f64 v[112:113], v[142:143], -v[146:147]
	v_add_f64 v[114:115], v[144:145], -v[148:149]
	ds_store_b128 v196, v[24:27] offset:4800
	ds_store_b128 v196, v[32:35] offset:9600
	ds_store_b128 v196, v[40:43] offset:14400
	ds_store_b128 v196, v[48:51] offset:19200
	ds_store_b128 v196, v[4:7] offset:24000
	ds_store_b128 v196, v[28:31] offset:28800
	ds_store_b128 v196, v[36:39] offset:33600
	ds_store_b128 v196, v[44:47] offset:38400
	ds_store_b128 v196, v[0:3]
	ds_store_b128 v196, v[52:55] offset:43200
	ds_store_b128 v206, v[56:59] offset:4800
	ds_store_b128 v206, v[64:67] offset:9600
	ds_store_b128 v206, v[72:75] offset:14400
	ds_store_b128 v206, v[80:83] offset:19200
	ds_store_b128 v206, v[12:15] offset:24000
	ds_store_b128 v206, v[60:63] offset:28800
	ds_store_b128 v206, v[68:71] offset:33600
	ds_store_b128 v206, v[76:79] offset:38400
	ds_store_b128 v206, v[8:11]
	ds_store_b128 v206, v[84:87] offset:43200
	;; [unrolled: 10-line block ×3, first 2 shown]
	s_waitcnt lgkmcnt(0)
	s_barrier
	buffer_gl0_inv
	ds_load_b128 v[4:7], v196
	v_sub_nc_u32_e32 v10, 0, v153
                                        ; implicit-def: $vgpr2_vgpr3
                                        ; implicit-def: $vgpr8_vgpr9
	v_cmpx_ne_u32_e32 0, v152
	s_xor_b32 s5, exec_lo, s5
	s_cbranch_execz .LBB0_15
; %bb.14:
	v_mov_b32_e32 v153, v169
	s_delay_alu instid0(VALU_DEP_1) | instskip(NEXT) | instid1(VALU_DEP_1)
	v_lshlrev_b64 v[0:1], 4, v[152:153]
	v_add_co_u32 v0, s0, s1, v0
	s_delay_alu instid0(VALU_DEP_1)
	v_add_co_ci_u32_e64 v1, s0, s4, v1, s0
	global_load_b128 v[11:14], v[0:1], off
	ds_load_b128 v[0:3], v10 offset:48000
	s_waitcnt lgkmcnt(0)
	v_add_f64 v[8:9], v[4:5], -v[0:1]
	v_add_f64 v[15:16], v[6:7], v[2:3]
	v_add_f64 v[2:3], v[6:7], -v[2:3]
	v_add_f64 v[0:1], v[4:5], v[0:1]
	s_delay_alu instid0(VALU_DEP_4) | instskip(NEXT) | instid1(VALU_DEP_4)
	v_mul_f64 v[6:7], v[8:9], 0.5
	v_mul_f64 v[4:5], v[15:16], 0.5
	s_delay_alu instid0(VALU_DEP_4) | instskip(SKIP_1) | instid1(VALU_DEP_3)
	v_mul_f64 v[2:3], v[2:3], 0.5
	s_waitcnt vmcnt(0)
	v_mul_f64 v[8:9], v[6:7], v[13:14]
	s_delay_alu instid0(VALU_DEP_2) | instskip(SKIP_1) | instid1(VALU_DEP_3)
	v_fma_f64 v[15:16], v[4:5], v[13:14], v[2:3]
	v_fma_f64 v[2:3], v[4:5], v[13:14], -v[2:3]
	v_fma_f64 v[17:18], v[0:1], 0.5, v[8:9]
	v_fma_f64 v[0:1], v[0:1], 0.5, -v[8:9]
	s_delay_alu instid0(VALU_DEP_4) | instskip(NEXT) | instid1(VALU_DEP_4)
	v_fma_f64 v[8:9], -v[11:12], v[6:7], v[15:16]
	v_fma_f64 v[2:3], -v[11:12], v[6:7], v[2:3]
	s_delay_alu instid0(VALU_DEP_4) | instskip(NEXT) | instid1(VALU_DEP_4)
	v_fma_f64 v[13:14], v[4:5], v[11:12], v[17:18]
	v_fma_f64 v[0:1], -v[4:5], v[11:12], v[0:1]
                                        ; implicit-def: $vgpr4_vgpr5
	ds_store_b64 v196, v[13:14]
.LBB0_15:
	s_or_saveexec_b32 s0, s5
	v_mul_i32_i24_e32 v12, 0xffffff70, v156
	v_mul_i32_i24_e32 v11, 0xffffff70, v167
	s_xor_b32 exec_lo, exec_lo, s0
	s_cbranch_execz .LBB0_17
; %bb.16:
	s_waitcnt lgkmcnt(0)
	v_add_f64 v[13:14], v[4:5], v[6:7]
	v_add_f64 v[0:1], v[4:5], -v[6:7]
	v_mov_b32_e32 v6, 0
	v_mov_b32_e32 v8, 0
	;; [unrolled: 1-line block ×3, first 2 shown]
	s_delay_alu instid0(VALU_DEP_2)
	v_mov_b32_e32 v2, v8
	ds_load_b64 v[4:5], v6 offset:24008
	v_mov_b32_e32 v3, v9
	s_waitcnt lgkmcnt(0)
	v_xor_b32_e32 v5, 0x80000000, v5
	ds_store_b64 v196, v[13:14]
	ds_store_b64 v6, v[4:5] offset:24008
.LBB0_17:
	s_or_b32 exec_lo, exec_lo, s0
	v_dual_mov_b32 v157, 0 :: v_dual_add_nc_u32 v12, v198, v12
	s_waitcnt lgkmcnt(0)
	s_delay_alu instid0(VALU_DEP_1) | instskip(SKIP_2) | instid1(VALU_DEP_2)
	v_lshlrev_b64 v[4:5], 4, v[156:157]
	v_mov_b32_e32 v168, v157
	v_add_nc_u32_e32 v156, 0x3e8, v152
	v_lshlrev_b64 v[13:14], 4, v[167:168]
	s_delay_alu instid0(VALU_DEP_4) | instskip(NEXT) | instid1(VALU_DEP_1)
	v_add_co_u32 v4, s0, s1, v4
	v_add_co_ci_u32_e64 v5, s0, s4, v5, s0
	v_mov_b32_e32 v167, v157
	s_delay_alu instid0(VALU_DEP_4)
	v_add_co_u32 v13, s0, s1, v13
	global_load_b128 v[4:7], v[4:5], off
	v_add_co_ci_u32_e64 v14, s0, s4, v14, s0
	global_load_b128 v[13:16], v[13:14], off
	ds_store_b64 v196, v[8:9] offset:8
	ds_store_b128 v10, v[0:3] offset:48000
	ds_load_b128 v[0:3], v12
	ds_load_b128 v[17:20], v10 offset:46400
	s_waitcnt lgkmcnt(0)
	v_add_f64 v[8:9], v[0:1], -v[17:18]
	v_add_f64 v[21:22], v[2:3], v[19:20]
	v_add_f64 v[2:3], v[2:3], -v[19:20]
	v_add_f64 v[0:1], v[0:1], v[17:18]
	s_delay_alu instid0(VALU_DEP_4) | instskip(NEXT) | instid1(VALU_DEP_4)
	v_mul_f64 v[8:9], v[8:9], 0.5
	v_mul_f64 v[19:20], v[21:22], 0.5
	s_delay_alu instid0(VALU_DEP_4) | instskip(SKIP_1) | instid1(VALU_DEP_3)
	v_mul_f64 v[2:3], v[2:3], 0.5
	s_waitcnt vmcnt(1)
	v_mul_f64 v[17:18], v[8:9], v[6:7]
	s_delay_alu instid0(VALU_DEP_2) | instskip(SKIP_1) | instid1(VALU_DEP_3)
	v_fma_f64 v[21:22], v[19:20], v[6:7], v[2:3]
	v_fma_f64 v[6:7], v[19:20], v[6:7], -v[2:3]
	v_fma_f64 v[23:24], v[0:1], 0.5, v[17:18]
	v_fma_f64 v[17:18], v[0:1], 0.5, -v[17:18]
	s_delay_alu instid0(VALU_DEP_4) | instskip(NEXT) | instid1(VALU_DEP_4)
	v_fma_f64 v[2:3], -v[4:5], v[8:9], v[21:22]
	v_fma_f64 v[6:7], -v[4:5], v[8:9], v[6:7]
	v_lshlrev_b64 v[8:9], 4, v[166:167]
	v_mov_b32_e32 v166, v157
	s_delay_alu instid0(VALU_DEP_2) | instskip(NEXT) | instid1(VALU_DEP_1)
	v_add_co_u32 v8, s0, s1, v8
	v_add_co_ci_u32_e64 v9, s0, s4, v9, s0
	v_fma_f64 v[0:1], v[19:20], v[4:5], v[23:24]
	v_fma_f64 v[4:5], -v[19:20], v[4:5], v[17:18]
	global_load_b128 v[17:20], v[8:9], off
	v_add_nc_u32_e32 v23, v197, v11
	ds_store_b128 v12, v[0:3]
	ds_store_b128 v10, v[4:7] offset:46400
	ds_load_b128 v[0:3], v23
	ds_load_b128 v[4:7], v10 offset:44800
	s_waitcnt lgkmcnt(0)
	v_add_f64 v[8:9], v[0:1], -v[4:5]
	v_add_f64 v[11:12], v[2:3], v[6:7]
	v_add_f64 v[2:3], v[2:3], -v[6:7]
	v_add_f64 v[0:1], v[0:1], v[4:5]
	s_delay_alu instid0(VALU_DEP_4) | instskip(NEXT) | instid1(VALU_DEP_4)
	v_mul_f64 v[6:7], v[8:9], 0.5
	v_mul_f64 v[8:9], v[11:12], 0.5
	s_delay_alu instid0(VALU_DEP_4) | instskip(SKIP_1) | instid1(VALU_DEP_3)
	v_mul_f64 v[2:3], v[2:3], 0.5
	s_waitcnt vmcnt(1)
	v_mul_f64 v[4:5], v[6:7], v[15:16]
	s_delay_alu instid0(VALU_DEP_2) | instskip(SKIP_1) | instid1(VALU_DEP_3)
	v_fma_f64 v[11:12], v[8:9], v[15:16], v[2:3]
	v_fma_f64 v[15:16], v[8:9], v[15:16], -v[2:3]
	v_fma_f64 v[21:22], v[0:1], 0.5, v[4:5]
	v_fma_f64 v[4:5], v[0:1], 0.5, -v[4:5]
	s_delay_alu instid0(VALU_DEP_4) | instskip(NEXT) | instid1(VALU_DEP_4)
	v_fma_f64 v[2:3], -v[13:14], v[6:7], v[11:12]
	v_fma_f64 v[6:7], -v[13:14], v[6:7], v[15:16]
	s_delay_alu instid0(VALU_DEP_4) | instskip(NEXT) | instid1(VALU_DEP_4)
	v_fma_f64 v[0:1], v[8:9], v[13:14], v[21:22]
	v_fma_f64 v[4:5], -v[8:9], v[13:14], v[4:5]
	v_lshlrev_b64 v[8:9], 4, v[165:166]
	v_mov_b32_e32 v165, v157
	s_delay_alu instid0(VALU_DEP_2) | instskip(NEXT) | instid1(VALU_DEP_1)
	v_add_co_u32 v8, s0, s1, v8
	v_add_co_ci_u32_e64 v9, s0, s4, v9, s0
	global_load_b128 v[11:14], v[8:9], off
	ds_store_b128 v23, v[0:3]
	ds_store_b128 v10, v[4:7] offset:44800
	ds_load_b128 v[0:3], v201
	ds_load_b128 v[4:7], v10 offset:43200
	s_waitcnt lgkmcnt(0)
	v_add_f64 v[8:9], v[0:1], -v[4:5]
	v_add_f64 v[15:16], v[2:3], v[6:7]
	v_add_f64 v[2:3], v[2:3], -v[6:7]
	v_add_f64 v[0:1], v[0:1], v[4:5]
	s_delay_alu instid0(VALU_DEP_4) | instskip(NEXT) | instid1(VALU_DEP_4)
	v_mul_f64 v[6:7], v[8:9], 0.5
	v_mul_f64 v[8:9], v[15:16], 0.5
	s_delay_alu instid0(VALU_DEP_4) | instskip(SKIP_1) | instid1(VALU_DEP_3)
	v_mul_f64 v[2:3], v[2:3], 0.5
	s_waitcnt vmcnt(1)
	v_mul_f64 v[4:5], v[6:7], v[19:20]
	s_delay_alu instid0(VALU_DEP_2) | instskip(SKIP_1) | instid1(VALU_DEP_3)
	v_fma_f64 v[15:16], v[8:9], v[19:20], v[2:3]
	v_fma_f64 v[19:20], v[8:9], v[19:20], -v[2:3]
	v_fma_f64 v[21:22], v[0:1], 0.5, v[4:5]
	v_fma_f64 v[4:5], v[0:1], 0.5, -v[4:5]
	s_delay_alu instid0(VALU_DEP_4) | instskip(NEXT) | instid1(VALU_DEP_4)
	v_fma_f64 v[2:3], -v[17:18], v[6:7], v[15:16]
	v_fma_f64 v[6:7], -v[17:18], v[6:7], v[19:20]
	s_delay_alu instid0(VALU_DEP_4) | instskip(NEXT) | instid1(VALU_DEP_4)
	v_fma_f64 v[0:1], v[8:9], v[17:18], v[21:22]
	v_fma_f64 v[4:5], -v[8:9], v[17:18], v[4:5]
	v_lshlrev_b64 v[8:9], 4, v[164:165]
	v_mov_b32_e32 v164, v157
	s_delay_alu instid0(VALU_DEP_2) | instskip(NEXT) | instid1(VALU_DEP_1)
	v_add_co_u32 v8, s0, s1, v8
	v_add_co_ci_u32_e64 v9, s0, s4, v9, s0
	global_load_b128 v[15:18], v[8:9], off
	;; [unrolled: 33-line block ×5, first 2 shown]
	ds_store_b128 v203, v[0:3]
	ds_store_b128 v10, v[4:7] offset:38400
	ds_load_b128 v[0:3], v202
	ds_load_b128 v[4:7], v10 offset:36800
	s_waitcnt lgkmcnt(0)
	v_add_f64 v[8:9], v[0:1], -v[4:5]
	v_add_f64 v[19:20], v[2:3], v[6:7]
	v_add_f64 v[2:3], v[2:3], -v[6:7]
	v_add_f64 v[0:1], v[0:1], v[4:5]
	s_delay_alu instid0(VALU_DEP_4) | instskip(NEXT) | instid1(VALU_DEP_4)
	v_mul_f64 v[6:7], v[8:9], 0.5
	v_mul_f64 v[8:9], v[19:20], 0.5
	s_delay_alu instid0(VALU_DEP_4) | instskip(SKIP_1) | instid1(VALU_DEP_3)
	v_mul_f64 v[2:3], v[2:3], 0.5
	s_waitcnt vmcnt(1)
	v_mul_f64 v[4:5], v[6:7], v[17:18]
	s_delay_alu instid0(VALU_DEP_2) | instskip(SKIP_1) | instid1(VALU_DEP_3)
	v_fma_f64 v[19:20], v[8:9], v[17:18], v[2:3]
	v_fma_f64 v[17:18], v[8:9], v[17:18], -v[2:3]
	v_fma_f64 v[21:22], v[0:1], 0.5, v[4:5]
	v_fma_f64 v[4:5], v[0:1], 0.5, -v[4:5]
	s_delay_alu instid0(VALU_DEP_4) | instskip(NEXT) | instid1(VALU_DEP_4)
	v_fma_f64 v[2:3], -v[15:16], v[6:7], v[19:20]
	v_fma_f64 v[6:7], -v[15:16], v[6:7], v[17:18]
	s_delay_alu instid0(VALU_DEP_4) | instskip(NEXT) | instid1(VALU_DEP_4)
	v_fma_f64 v[0:1], v[8:9], v[15:16], v[21:22]
	v_fma_f64 v[4:5], -v[8:9], v[15:16], v[4:5]
	v_lshlrev_b64 v[8:9], 4, v[160:161]
	s_delay_alu instid0(VALU_DEP_1) | instskip(NEXT) | instid1(VALU_DEP_1)
	v_add_co_u32 v8, s0, s1, v8
	v_add_co_ci_u32_e64 v9, s0, s4, v9, s0
	global_load_b128 v[15:18], v[8:9], off
	ds_store_b128 v202, v[0:3]
	ds_store_b128 v10, v[4:7] offset:36800
	ds_load_b128 v[0:3], v200
	ds_load_b128 v[4:7], v10 offset:35200
	s_waitcnt lgkmcnt(0)
	v_add_f64 v[8:9], v[0:1], -v[4:5]
	v_add_f64 v[19:20], v[2:3], v[6:7]
	v_add_f64 v[2:3], v[2:3], -v[6:7]
	v_add_f64 v[0:1], v[0:1], v[4:5]
	s_delay_alu instid0(VALU_DEP_4) | instskip(NEXT) | instid1(VALU_DEP_4)
	v_mul_f64 v[6:7], v[8:9], 0.5
	v_mul_f64 v[8:9], v[19:20], 0.5
	s_delay_alu instid0(VALU_DEP_4) | instskip(SKIP_1) | instid1(VALU_DEP_3)
	v_mul_f64 v[2:3], v[2:3], 0.5
	s_waitcnt vmcnt(1)
	v_mul_f64 v[4:5], v[6:7], v[13:14]
	s_delay_alu instid0(VALU_DEP_2) | instskip(SKIP_1) | instid1(VALU_DEP_3)
	v_fma_f64 v[19:20], v[8:9], v[13:14], v[2:3]
	v_fma_f64 v[13:14], v[8:9], v[13:14], -v[2:3]
	v_fma_f64 v[21:22], v[0:1], 0.5, v[4:5]
	v_fma_f64 v[4:5], v[0:1], 0.5, -v[4:5]
	s_delay_alu instid0(VALU_DEP_4) | instskip(NEXT) | instid1(VALU_DEP_4)
	v_fma_f64 v[2:3], -v[11:12], v[6:7], v[19:20]
	v_fma_f64 v[6:7], -v[11:12], v[6:7], v[13:14]
	s_delay_alu instid0(VALU_DEP_4) | instskip(NEXT) | instid1(VALU_DEP_4)
	v_fma_f64 v[0:1], v[8:9], v[11:12], v[21:22]
	v_fma_f64 v[4:5], -v[8:9], v[11:12], v[4:5]
	v_lshlrev_b64 v[8:9], 4, v[156:157]
	v_add_nc_u32_e32 v156, 0x44c, v152
	s_delay_alu instid0(VALU_DEP_2) | instskip(NEXT) | instid1(VALU_DEP_1)
	v_add_co_u32 v8, s0, s1, v8
	v_add_co_ci_u32_e64 v9, s0, s4, v9, s0
	global_load_b128 v[11:14], v[8:9], off
	ds_store_b128 v200, v[0:3]
	ds_store_b128 v10, v[4:7] offset:35200
	ds_load_b128 v[0:3], v199
	ds_load_b128 v[4:7], v10 offset:33600
	s_waitcnt lgkmcnt(0)
	v_add_f64 v[8:9], v[0:1], -v[4:5]
	v_add_f64 v[19:20], v[2:3], v[6:7]
	v_add_f64 v[2:3], v[2:3], -v[6:7]
	v_add_f64 v[0:1], v[0:1], v[4:5]
	s_delay_alu instid0(VALU_DEP_4) | instskip(NEXT) | instid1(VALU_DEP_4)
	v_mul_f64 v[6:7], v[8:9], 0.5
	v_mul_f64 v[8:9], v[19:20], 0.5
	s_delay_alu instid0(VALU_DEP_4) | instskip(SKIP_1) | instid1(VALU_DEP_3)
	v_mul_f64 v[2:3], v[2:3], 0.5
	s_waitcnt vmcnt(1)
	v_mul_f64 v[4:5], v[6:7], v[17:18]
	s_delay_alu instid0(VALU_DEP_2) | instskip(SKIP_1) | instid1(VALU_DEP_3)
	v_fma_f64 v[19:20], v[8:9], v[17:18], v[2:3]
	v_fma_f64 v[17:18], v[8:9], v[17:18], -v[2:3]
	v_fma_f64 v[21:22], v[0:1], 0.5, v[4:5]
	v_fma_f64 v[4:5], v[0:1], 0.5, -v[4:5]
	s_delay_alu instid0(VALU_DEP_4) | instskip(NEXT) | instid1(VALU_DEP_4)
	v_fma_f64 v[2:3], -v[15:16], v[6:7], v[19:20]
	v_fma_f64 v[6:7], -v[15:16], v[6:7], v[17:18]
	s_delay_alu instid0(VALU_DEP_4) | instskip(NEXT) | instid1(VALU_DEP_4)
	v_fma_f64 v[0:1], v[8:9], v[15:16], v[21:22]
	v_fma_f64 v[4:5], -v[8:9], v[15:16], v[4:5]
	v_lshlrev_b64 v[8:9], 4, v[156:157]
	v_add_nc_u32_e32 v156, 0x4b0, v152
	s_delay_alu instid0(VALU_DEP_2) | instskip(NEXT) | instid1(VALU_DEP_1)
	v_add_co_u32 v8, s0, s1, v8
	v_add_co_ci_u32_e64 v9, s0, s4, v9, s0
	global_load_b128 v[15:18], v[8:9], off
	ds_store_b128 v199, v[0:3]
	ds_store_b128 v10, v[4:7] offset:33600
	ds_load_b128 v[0:3], v196 offset:16000
	ds_load_b128 v[4:7], v10 offset:32000
	s_waitcnt lgkmcnt(0)
	v_add_f64 v[8:9], v[0:1], -v[4:5]
	v_add_f64 v[19:20], v[2:3], v[6:7]
	v_add_f64 v[2:3], v[2:3], -v[6:7]
	v_add_f64 v[0:1], v[0:1], v[4:5]
	s_delay_alu instid0(VALU_DEP_4) | instskip(NEXT) | instid1(VALU_DEP_4)
	v_mul_f64 v[6:7], v[8:9], 0.5
	v_mul_f64 v[8:9], v[19:20], 0.5
	s_delay_alu instid0(VALU_DEP_4) | instskip(SKIP_1) | instid1(VALU_DEP_3)
	v_mul_f64 v[2:3], v[2:3], 0.5
	s_waitcnt vmcnt(1)
	v_mul_f64 v[4:5], v[6:7], v[13:14]
	s_delay_alu instid0(VALU_DEP_2) | instskip(SKIP_1) | instid1(VALU_DEP_3)
	v_fma_f64 v[19:20], v[8:9], v[13:14], v[2:3]
	v_fma_f64 v[13:14], v[8:9], v[13:14], -v[2:3]
	v_fma_f64 v[21:22], v[0:1], 0.5, v[4:5]
	v_fma_f64 v[4:5], v[0:1], 0.5, -v[4:5]
	s_delay_alu instid0(VALU_DEP_4) | instskip(NEXT) | instid1(VALU_DEP_4)
	v_fma_f64 v[2:3], -v[11:12], v[6:7], v[19:20]
	v_fma_f64 v[6:7], -v[11:12], v[6:7], v[13:14]
	s_delay_alu instid0(VALU_DEP_4) | instskip(NEXT) | instid1(VALU_DEP_4)
	v_fma_f64 v[0:1], v[8:9], v[11:12], v[21:22]
	v_fma_f64 v[4:5], -v[8:9], v[11:12], v[4:5]
	v_lshlrev_b64 v[8:9], 4, v[156:157]
	v_add_nc_u32_e32 v156, 0x514, v152
	s_delay_alu instid0(VALU_DEP_2) | instskip(NEXT) | instid1(VALU_DEP_1)
	v_add_co_u32 v8, s0, s1, v8
	v_add_co_ci_u32_e64 v9, s0, s4, v9, s0
	global_load_b128 v[11:14], v[8:9], off
	ds_store_b128 v196, v[0:3] offset:16000
	ds_store_b128 v10, v[4:7] offset:32000
	ds_load_b128 v[0:3], v196 offset:17600
	ds_load_b128 v[4:7], v10 offset:30400
	s_waitcnt lgkmcnt(0)
	v_add_f64 v[8:9], v[0:1], -v[4:5]
	v_add_f64 v[19:20], v[2:3], v[6:7]
	v_add_f64 v[2:3], v[2:3], -v[6:7]
	v_add_f64 v[0:1], v[0:1], v[4:5]
	s_delay_alu instid0(VALU_DEP_4) | instskip(NEXT) | instid1(VALU_DEP_4)
	v_mul_f64 v[6:7], v[8:9], 0.5
	v_mul_f64 v[8:9], v[19:20], 0.5
	s_delay_alu instid0(VALU_DEP_4) | instskip(SKIP_1) | instid1(VALU_DEP_3)
	v_mul_f64 v[2:3], v[2:3], 0.5
	s_waitcnt vmcnt(1)
	v_mul_f64 v[4:5], v[6:7], v[17:18]
	s_delay_alu instid0(VALU_DEP_2) | instskip(SKIP_1) | instid1(VALU_DEP_3)
	v_fma_f64 v[19:20], v[8:9], v[17:18], v[2:3]
	v_fma_f64 v[17:18], v[8:9], v[17:18], -v[2:3]
	v_fma_f64 v[21:22], v[0:1], 0.5, v[4:5]
	v_fma_f64 v[4:5], v[0:1], 0.5, -v[4:5]
	s_delay_alu instid0(VALU_DEP_4) | instskip(NEXT) | instid1(VALU_DEP_4)
	v_fma_f64 v[2:3], -v[15:16], v[6:7], v[19:20]
	v_fma_f64 v[6:7], -v[15:16], v[6:7], v[17:18]
	s_delay_alu instid0(VALU_DEP_4) | instskip(NEXT) | instid1(VALU_DEP_4)
	v_fma_f64 v[0:1], v[8:9], v[15:16], v[21:22]
	v_fma_f64 v[4:5], -v[8:9], v[15:16], v[4:5]
	v_lshlrev_b64 v[8:9], 4, v[156:157]
	v_add_nc_u32_e32 v156, 0x578, v152
	s_delay_alu instid0(VALU_DEP_2) | instskip(NEXT) | instid1(VALU_DEP_1)
	v_add_co_u32 v8, s0, s1, v8
	v_add_co_ci_u32_e64 v9, s0, s4, v9, s0
	global_load_b128 v[15:18], v[8:9], off
	ds_store_b128 v196, v[0:3] offset:17600
	ds_store_b128 v10, v[4:7] offset:30400
	ds_load_b128 v[0:3], v196 offset:19200
	ds_load_b128 v[4:7], v10 offset:28800
	s_waitcnt lgkmcnt(0)
	v_add_f64 v[8:9], v[0:1], -v[4:5]
	v_add_f64 v[19:20], v[2:3], v[6:7]
	v_add_f64 v[2:3], v[2:3], -v[6:7]
	v_add_f64 v[0:1], v[0:1], v[4:5]
	s_delay_alu instid0(VALU_DEP_4) | instskip(NEXT) | instid1(VALU_DEP_4)
	v_mul_f64 v[6:7], v[8:9], 0.5
	v_mul_f64 v[8:9], v[19:20], 0.5
	s_delay_alu instid0(VALU_DEP_4) | instskip(SKIP_1) | instid1(VALU_DEP_3)
	v_mul_f64 v[2:3], v[2:3], 0.5
	s_waitcnt vmcnt(1)
	v_mul_f64 v[4:5], v[6:7], v[13:14]
	s_delay_alu instid0(VALU_DEP_2) | instskip(SKIP_1) | instid1(VALU_DEP_3)
	v_fma_f64 v[19:20], v[8:9], v[13:14], v[2:3]
	v_fma_f64 v[13:14], v[8:9], v[13:14], -v[2:3]
	v_fma_f64 v[21:22], v[0:1], 0.5, v[4:5]
	v_fma_f64 v[4:5], v[0:1], 0.5, -v[4:5]
	s_delay_alu instid0(VALU_DEP_4) | instskip(NEXT) | instid1(VALU_DEP_4)
	v_fma_f64 v[2:3], -v[11:12], v[6:7], v[19:20]
	v_fma_f64 v[6:7], -v[11:12], v[6:7], v[13:14]
	s_delay_alu instid0(VALU_DEP_4) | instskip(NEXT) | instid1(VALU_DEP_4)
	v_fma_f64 v[0:1], v[8:9], v[11:12], v[21:22]
	v_fma_f64 v[4:5], -v[8:9], v[11:12], v[4:5]
	v_lshlrev_b64 v[8:9], 4, v[156:157]
	s_delay_alu instid0(VALU_DEP_1) | instskip(NEXT) | instid1(VALU_DEP_1)
	v_add_co_u32 v8, s0, s1, v8
	v_add_co_ci_u32_e64 v9, s0, s4, v9, s0
	global_load_b128 v[11:14], v[8:9], off
	ds_store_b128 v196, v[0:3] offset:19200
	ds_store_b128 v10, v[4:7] offset:28800
	ds_load_b128 v[0:3], v196 offset:20800
	ds_load_b128 v[4:7], v10 offset:27200
	s_waitcnt lgkmcnt(0)
	v_add_f64 v[8:9], v[0:1], -v[4:5]
	v_add_f64 v[19:20], v[2:3], v[6:7]
	v_add_f64 v[2:3], v[2:3], -v[6:7]
	v_add_f64 v[0:1], v[0:1], v[4:5]
	s_delay_alu instid0(VALU_DEP_4) | instskip(NEXT) | instid1(VALU_DEP_4)
	v_mul_f64 v[6:7], v[8:9], 0.5
	v_mul_f64 v[8:9], v[19:20], 0.5
	s_delay_alu instid0(VALU_DEP_4) | instskip(SKIP_1) | instid1(VALU_DEP_3)
	v_mul_f64 v[2:3], v[2:3], 0.5
	s_waitcnt vmcnt(1)
	v_mul_f64 v[4:5], v[6:7], v[17:18]
	s_delay_alu instid0(VALU_DEP_2) | instskip(SKIP_1) | instid1(VALU_DEP_3)
	v_fma_f64 v[19:20], v[8:9], v[17:18], v[2:3]
	v_fma_f64 v[17:18], v[8:9], v[17:18], -v[2:3]
	v_fma_f64 v[21:22], v[0:1], 0.5, v[4:5]
	v_fma_f64 v[4:5], v[0:1], 0.5, -v[4:5]
	s_delay_alu instid0(VALU_DEP_4) | instskip(NEXT) | instid1(VALU_DEP_4)
	v_fma_f64 v[2:3], -v[15:16], v[6:7], v[19:20]
	v_fma_f64 v[6:7], -v[15:16], v[6:7], v[17:18]
	s_delay_alu instid0(VALU_DEP_4) | instskip(NEXT) | instid1(VALU_DEP_4)
	v_fma_f64 v[0:1], v[8:9], v[15:16], v[21:22]
	v_fma_f64 v[4:5], -v[8:9], v[15:16], v[4:5]
	ds_store_b128 v196, v[0:3] offset:20800
	ds_store_b128 v10, v[4:7] offset:27200
	ds_load_b128 v[0:3], v196 offset:22400
	ds_load_b128 v[4:7], v10 offset:25600
	s_waitcnt lgkmcnt(0)
	v_add_f64 v[8:9], v[0:1], -v[4:5]
	v_add_f64 v[15:16], v[2:3], v[6:7]
	v_add_f64 v[2:3], v[2:3], -v[6:7]
	v_add_f64 v[0:1], v[0:1], v[4:5]
	s_delay_alu instid0(VALU_DEP_4) | instskip(NEXT) | instid1(VALU_DEP_4)
	v_mul_f64 v[6:7], v[8:9], 0.5
	v_mul_f64 v[8:9], v[15:16], 0.5
	s_delay_alu instid0(VALU_DEP_4) | instskip(SKIP_1) | instid1(VALU_DEP_3)
	v_mul_f64 v[2:3], v[2:3], 0.5
	s_waitcnt vmcnt(0)
	v_mul_f64 v[4:5], v[6:7], v[13:14]
	s_delay_alu instid0(VALU_DEP_2) | instskip(SKIP_1) | instid1(VALU_DEP_3)
	v_fma_f64 v[15:16], v[8:9], v[13:14], v[2:3]
	v_fma_f64 v[13:14], v[8:9], v[13:14], -v[2:3]
	v_fma_f64 v[17:18], v[0:1], 0.5, v[4:5]
	v_fma_f64 v[4:5], v[0:1], 0.5, -v[4:5]
	s_delay_alu instid0(VALU_DEP_4) | instskip(NEXT) | instid1(VALU_DEP_4)
	v_fma_f64 v[2:3], -v[11:12], v[6:7], v[15:16]
	v_fma_f64 v[6:7], -v[11:12], v[6:7], v[13:14]
	s_delay_alu instid0(VALU_DEP_4) | instskip(NEXT) | instid1(VALU_DEP_4)
	v_fma_f64 v[0:1], v[8:9], v[11:12], v[17:18]
	v_fma_f64 v[4:5], -v[8:9], v[11:12], v[4:5]
	ds_store_b128 v196, v[0:3] offset:22400
	ds_store_b128 v10, v[4:7] offset:25600
	s_waitcnt lgkmcnt(0)
	s_barrier
	buffer_gl0_inv
	s_and_saveexec_b32 s0, vcc_lo
	s_cbranch_execz .LBB0_20
; %bb.18:
	v_mul_lo_u32 v2, s3, v158
	v_mul_lo_u32 v3, s2, v159
	v_mad_u64_u32 v[0:1], null, s2, v158, 0
	v_lshl_add_u32 v32, v152, 4, 0
	v_dual_mov_b32 v153, v157 :: v_dual_add_nc_u32 v156, 0x64, v152
	v_lshlrev_b64 v[10:11], 4, v[154:155]
	ds_load_b128 v[6:9], v32 offset:1600
	v_add3_u32 v1, v1, v3, v2
	ds_load_b128 v[2:5], v32
	v_lshlrev_b64 v[12:13], 4, v[152:153]
	v_lshlrev_b64 v[14:15], 4, v[156:157]
	v_add_nc_u32_e32 v156, 0xc8, v152
	v_lshlrev_b64 v[0:1], 4, v[0:1]
	s_delay_alu instid0(VALU_DEP_2) | instskip(SKIP_1) | instid1(VALU_DEP_3)
	v_lshlrev_b64 v[22:23], 4, v[156:157]
	v_add_nc_u32_e32 v156, 0x12c, v152
	v_add_co_u32 v0, vcc_lo, s6, v0
	s_delay_alu instid0(VALU_DEP_4) | instskip(NEXT) | instid1(VALU_DEP_3)
	v_add_co_ci_u32_e32 v1, vcc_lo, s7, v1, vcc_lo
	v_lshlrev_b64 v[24:25], 4, v[156:157]
	s_delay_alu instid0(VALU_DEP_3) | instskip(NEXT) | instid1(VALU_DEP_3)
	v_add_co_u32 v0, vcc_lo, v0, v10
	v_add_co_ci_u32_e32 v1, vcc_lo, v1, v11, vcc_lo
	v_add_nc_u32_e32 v156, 0x190, v152
	s_delay_alu instid0(VALU_DEP_3) | instskip(NEXT) | instid1(VALU_DEP_3)
	v_add_co_u32 v18, vcc_lo, v0, v12
	v_add_co_ci_u32_e32 v19, vcc_lo, v1, v13, vcc_lo
	v_add_co_u32 v20, vcc_lo, v0, v14
	v_add_co_ci_u32_e32 v21, vcc_lo, v1, v15, vcc_lo
	ds_load_b128 v[10:13], v32 offset:3200
	ds_load_b128 v[14:17], v32 offset:46400
	s_waitcnt lgkmcnt(2)
	s_clause 0x1
	global_store_b128 v[18:19], v[2:5], off
	global_store_b128 v[20:21], v[6:9], off
	ds_load_b128 v[2:5], v32 offset:4800
	ds_load_b128 v[6:9], v32 offset:6400
	;; [unrolled: 1-line block ×3, first 2 shown]
	v_lshlrev_b64 v[26:27], 4, v[156:157]
	v_add_nc_u32_e32 v156, 0x1f4, v152
	v_add_co_u32 v22, vcc_lo, v0, v22
	v_add_co_ci_u32_e32 v23, vcc_lo, v1, v23, vcc_lo
	v_add_co_u32 v24, vcc_lo, v0, v24
	s_delay_alu instid0(VALU_DEP_4)
	v_lshlrev_b64 v[28:29], 4, v[156:157]
	v_add_nc_u32_e32 v156, 0x258, v152
	v_add_co_ci_u32_e32 v25, vcc_lo, v1, v25, vcc_lo
	v_add_co_u32 v26, vcc_lo, v0, v26
	v_add_co_ci_u32_e32 v27, vcc_lo, v1, v27, vcc_lo
	v_add_co_u32 v28, vcc_lo, v0, v28
	v_lshlrev_b64 v[30:31], 4, v[156:157]
	v_add_nc_u32_e32 v156, 0x2bc, v152
	v_add_co_ci_u32_e32 v29, vcc_lo, v1, v29, vcc_lo
	s_waitcnt lgkmcnt(4)
	global_store_b128 v[22:23], v[10:13], off
	s_waitcnt lgkmcnt(2)
	global_store_b128 v[24:25], v[2:5], off
	ds_load_b128 v[2:5], v32 offset:9600
	v_lshlrev_b64 v[22:23], 4, v[156:157]
	v_add_nc_u32_e32 v156, 0x320, v152
	s_waitcnt lgkmcnt(2)
	global_store_b128 v[26:27], v[6:9], off
	s_waitcnt lgkmcnt(1)
	global_store_b128 v[28:29], v[18:21], off
	ds_load_b128 v[6:9], v32 offset:11200
	ds_load_b128 v[10:13], v32 offset:12800
	ds_load_b128 v[18:21], v32 offset:14400
	v_add_co_u32 v24, vcc_lo, v0, v30
	v_lshlrev_b64 v[26:27], 4, v[156:157]
	v_add_nc_u32_e32 v156, 0x384, v152
	v_add_co_ci_u32_e32 v25, vcc_lo, v1, v31, vcc_lo
	v_add_co_u32 v22, vcc_lo, v0, v22
	s_delay_alu instid0(VALU_DEP_3)
	v_lshlrev_b64 v[28:29], 4, v[156:157]
	v_add_nc_u32_e32 v156, 0x3e8, v152
	v_add_co_ci_u32_e32 v23, vcc_lo, v1, v23, vcc_lo
	v_add_co_u32 v26, vcc_lo, v0, v26
	v_add_co_ci_u32_e32 v27, vcc_lo, v1, v27, vcc_lo
	v_add_co_u32 v28, vcc_lo, v0, v28
	v_lshlrev_b64 v[30:31], 4, v[156:157]
	v_add_nc_u32_e32 v156, 0x44c, v152
	v_add_co_ci_u32_e32 v29, vcc_lo, v1, v29, vcc_lo
	s_waitcnt lgkmcnt(3)
	global_store_b128 v[24:25], v[2:5], off
	s_waitcnt lgkmcnt(2)
	global_store_b128 v[22:23], v[6:9], off
	ds_load_b128 v[2:5], v32 offset:16000
	v_lshlrev_b64 v[22:23], 4, v[156:157]
	v_add_nc_u32_e32 v156, 0x4b0, v152
	s_waitcnt lgkmcnt(2)
	global_store_b128 v[26:27], v[10:13], off
	s_waitcnt lgkmcnt(1)
	global_store_b128 v[28:29], v[18:21], off
	ds_load_b128 v[6:9], v32 offset:17600
	ds_load_b128 v[10:13], v32 offset:19200
	ds_load_b128 v[18:21], v32 offset:20800
	v_add_co_u32 v24, vcc_lo, v0, v30
	v_lshlrev_b64 v[26:27], 4, v[156:157]
	v_add_nc_u32_e32 v156, 0x514, v152
	v_add_co_ci_u32_e32 v25, vcc_lo, v1, v31, vcc_lo
	v_add_co_u32 v22, vcc_lo, v0, v22
	s_delay_alu instid0(VALU_DEP_3)
	;; [unrolled: 29-line block ×5, first 2 shown]
	v_lshlrev_b64 v[28:29], 4, v[156:157]
	v_add_co_ci_u32_e32 v23, vcc_lo, v1, v23, vcc_lo
	v_add_nc_u32_e32 v156, 0xa28, v152
	v_add_co_u32 v26, vcc_lo, v0, v26
	v_add_co_ci_u32_e32 v27, vcc_lo, v1, v27, vcc_lo
	v_add_co_u32 v28, vcc_lo, v0, v28
	s_delay_alu instid0(VALU_DEP_4)
	v_lshlrev_b64 v[30:31], 4, v[156:157]
	v_add_nc_u32_e32 v156, 0xa8c, v152
	v_add_co_ci_u32_e32 v29, vcc_lo, v1, v29, vcc_lo
	s_waitcnt lgkmcnt(3)
	global_store_b128 v[24:25], v[2:5], off
	s_waitcnt lgkmcnt(2)
	global_store_b128 v[22:23], v[6:9], off
	ds_load_b128 v[2:5], v32 offset:41600
	s_waitcnt lgkmcnt(2)
	global_store_b128 v[26:27], v[10:13], off
	s_waitcnt lgkmcnt(1)
	global_store_b128 v[28:29], v[18:21], off
	v_lshlrev_b64 v[18:19], 4, v[156:157]
	v_add_nc_u32_e32 v156, 0xaf0, v152
	ds_load_b128 v[6:9], v32 offset:43200
	ds_load_b128 v[10:13], v32 offset:44800
	v_add_co_u32 v20, vcc_lo, v0, v30
	v_add_co_ci_u32_e32 v21, vcc_lo, v1, v31, vcc_lo
	v_lshlrev_b64 v[22:23], 4, v[156:157]
	v_add_nc_u32_e32 v156, 0xb54, v152
	v_add_co_u32 v18, vcc_lo, v0, v18
	v_add_co_ci_u32_e32 v19, vcc_lo, v1, v19, vcc_lo
	s_delay_alu instid0(VALU_DEP_3) | instskip(SKIP_2) | instid1(VALU_DEP_3)
	v_lshlrev_b64 v[24:25], 4, v[156:157]
	v_add_co_u32 v22, vcc_lo, v0, v22
	v_add_co_ci_u32_e32 v23, vcc_lo, v1, v23, vcc_lo
	v_add_co_u32 v24, vcc_lo, v0, v24
	s_delay_alu instid0(VALU_DEP_4)
	v_add_co_ci_u32_e32 v25, vcc_lo, v1, v25, vcc_lo
	v_cmp_eq_u32_e32 vcc_lo, 0x63, v152
	s_waitcnt lgkmcnt(2)
	global_store_b128 v[20:21], v[2:5], off
	s_waitcnt lgkmcnt(1)
	global_store_b128 v[18:19], v[6:9], off
	s_waitcnt lgkmcnt(0)
	s_clause 0x1
	global_store_b128 v[22:23], v[10:13], off
	global_store_b128 v[24:25], v[14:17], off
	s_and_b32 exec_lo, exec_lo, vcc_lo
	s_cbranch_execz .LBB0_20
; %bb.19:
	v_mov_b32_e32 v2, 0
	v_add_co_u32 v0, vcc_lo, 0xb000, v0
	v_add_co_ci_u32_e32 v1, vcc_lo, 0, v1, vcc_lo
	ds_load_b128 v[2:5], v2 offset:48000
	s_waitcnt lgkmcnt(0)
	global_store_b128 v[0:1], v[2:5], off offset:2944
.LBB0_20:
	s_nop 0
	s_sendmsg sendmsg(MSG_DEALLOC_VGPRS)
	s_endpgm
	.section	.rodata,"a",@progbits
	.p2align	6, 0x0
	.amdhsa_kernel fft_rtc_back_len3000_factors_10_3_10_10_wgs_100_tpt_100_halfLds_dp_op_CI_CI_unitstride_sbrr_R2C_dirReg
		.amdhsa_group_segment_fixed_size 0
		.amdhsa_private_segment_fixed_size 0
		.amdhsa_kernarg_size 104
		.amdhsa_user_sgpr_count 15
		.amdhsa_user_sgpr_dispatch_ptr 0
		.amdhsa_user_sgpr_queue_ptr 0
		.amdhsa_user_sgpr_kernarg_segment_ptr 1
		.amdhsa_user_sgpr_dispatch_id 0
		.amdhsa_user_sgpr_private_segment_size 0
		.amdhsa_wavefront_size32 1
		.amdhsa_uses_dynamic_stack 0
		.amdhsa_enable_private_segment 0
		.amdhsa_system_sgpr_workgroup_id_x 1
		.amdhsa_system_sgpr_workgroup_id_y 0
		.amdhsa_system_sgpr_workgroup_id_z 0
		.amdhsa_system_sgpr_workgroup_info 0
		.amdhsa_system_vgpr_workitem_id 0
		.amdhsa_next_free_vgpr 245
		.amdhsa_next_free_sgpr 27
		.amdhsa_reserve_vcc 1
		.amdhsa_float_round_mode_32 0
		.amdhsa_float_round_mode_16_64 0
		.amdhsa_float_denorm_mode_32 3
		.amdhsa_float_denorm_mode_16_64 3
		.amdhsa_dx10_clamp 1
		.amdhsa_ieee_mode 1
		.amdhsa_fp16_overflow 0
		.amdhsa_workgroup_processor_mode 1
		.amdhsa_memory_ordered 1
		.amdhsa_forward_progress 0
		.amdhsa_shared_vgpr_count 0
		.amdhsa_exception_fp_ieee_invalid_op 0
		.amdhsa_exception_fp_denorm_src 0
		.amdhsa_exception_fp_ieee_div_zero 0
		.amdhsa_exception_fp_ieee_overflow 0
		.amdhsa_exception_fp_ieee_underflow 0
		.amdhsa_exception_fp_ieee_inexact 0
		.amdhsa_exception_int_div_zero 0
	.end_amdhsa_kernel
	.text
.Lfunc_end0:
	.size	fft_rtc_back_len3000_factors_10_3_10_10_wgs_100_tpt_100_halfLds_dp_op_CI_CI_unitstride_sbrr_R2C_dirReg, .Lfunc_end0-fft_rtc_back_len3000_factors_10_3_10_10_wgs_100_tpt_100_halfLds_dp_op_CI_CI_unitstride_sbrr_R2C_dirReg
                                        ; -- End function
	.section	.AMDGPU.csdata,"",@progbits
; Kernel info:
; codeLenInByte = 26512
; NumSgprs: 29
; NumVgprs: 245
; ScratchSize: 0
; MemoryBound: 0
; FloatMode: 240
; IeeeMode: 1
; LDSByteSize: 0 bytes/workgroup (compile time only)
; SGPRBlocks: 3
; VGPRBlocks: 30
; NumSGPRsForWavesPerEU: 29
; NumVGPRsForWavesPerEU: 245
; Occupancy: 5
; WaveLimiterHint : 1
; COMPUTE_PGM_RSRC2:SCRATCH_EN: 0
; COMPUTE_PGM_RSRC2:USER_SGPR: 15
; COMPUTE_PGM_RSRC2:TRAP_HANDLER: 0
; COMPUTE_PGM_RSRC2:TGID_X_EN: 1
; COMPUTE_PGM_RSRC2:TGID_Y_EN: 0
; COMPUTE_PGM_RSRC2:TGID_Z_EN: 0
; COMPUTE_PGM_RSRC2:TIDIG_COMP_CNT: 0
	.text
	.p2alignl 7, 3214868480
	.fill 96, 4, 3214868480
	.type	__hip_cuid_44fcacf532e7e09,@object ; @__hip_cuid_44fcacf532e7e09
	.section	.bss,"aw",@nobits
	.globl	__hip_cuid_44fcacf532e7e09
__hip_cuid_44fcacf532e7e09:
	.byte	0                               ; 0x0
	.size	__hip_cuid_44fcacf532e7e09, 1

	.ident	"AMD clang version 19.0.0git (https://github.com/RadeonOpenCompute/llvm-project roc-6.4.0 25133 c7fe45cf4b819c5991fe208aaa96edf142730f1d)"
	.section	".note.GNU-stack","",@progbits
	.addrsig
	.addrsig_sym __hip_cuid_44fcacf532e7e09
	.amdgpu_metadata
---
amdhsa.kernels:
  - .args:
      - .actual_access:  read_only
        .address_space:  global
        .offset:         0
        .size:           8
        .value_kind:     global_buffer
      - .offset:         8
        .size:           8
        .value_kind:     by_value
      - .actual_access:  read_only
        .address_space:  global
        .offset:         16
        .size:           8
        .value_kind:     global_buffer
      - .actual_access:  read_only
        .address_space:  global
        .offset:         24
        .size:           8
        .value_kind:     global_buffer
      - .actual_access:  read_only
        .address_space:  global
        .offset:         32
        .size:           8
        .value_kind:     global_buffer
      - .offset:         40
        .size:           8
        .value_kind:     by_value
      - .actual_access:  read_only
        .address_space:  global
        .offset:         48
        .size:           8
        .value_kind:     global_buffer
      - .actual_access:  read_only
        .address_space:  global
        .offset:         56
        .size:           8
        .value_kind:     global_buffer
      - .offset:         64
        .size:           4
        .value_kind:     by_value
      - .actual_access:  read_only
        .address_space:  global
        .offset:         72
        .size:           8
        .value_kind:     global_buffer
      - .actual_access:  read_only
        .address_space:  global
        .offset:         80
        .size:           8
        .value_kind:     global_buffer
      - .actual_access:  read_only
        .address_space:  global
        .offset:         88
        .size:           8
        .value_kind:     global_buffer
      - .actual_access:  write_only
        .address_space:  global
        .offset:         96
        .size:           8
        .value_kind:     global_buffer
    .group_segment_fixed_size: 0
    .kernarg_segment_align: 8
    .kernarg_segment_size: 104
    .language:       OpenCL C
    .language_version:
      - 2
      - 0
    .max_flat_workgroup_size: 100
    .name:           fft_rtc_back_len3000_factors_10_3_10_10_wgs_100_tpt_100_halfLds_dp_op_CI_CI_unitstride_sbrr_R2C_dirReg
    .private_segment_fixed_size: 0
    .sgpr_count:     29
    .sgpr_spill_count: 0
    .symbol:         fft_rtc_back_len3000_factors_10_3_10_10_wgs_100_tpt_100_halfLds_dp_op_CI_CI_unitstride_sbrr_R2C_dirReg.kd
    .uniform_work_group_size: 1
    .uses_dynamic_stack: false
    .vgpr_count:     245
    .vgpr_spill_count: 0
    .wavefront_size: 32
    .workgroup_processor_mode: 1
amdhsa.target:   amdgcn-amd-amdhsa--gfx1100
amdhsa.version:
  - 1
  - 2
...

	.end_amdgpu_metadata
